;; amdgpu-corpus repo=ROCm/rocFFT kind=compiled arch=gfx1030 opt=O3
	.text
	.amdgcn_target "amdgcn-amd-amdhsa--gfx1030"
	.amdhsa_code_object_version 6
	.protected	bluestein_single_back_len1089_dim1_half_op_CI_CI ; -- Begin function bluestein_single_back_len1089_dim1_half_op_CI_CI
	.globl	bluestein_single_back_len1089_dim1_half_op_CI_CI
	.p2align	8
	.type	bluestein_single_back_len1089_dim1_half_op_CI_CI,@function
bluestein_single_back_len1089_dim1_half_op_CI_CI: ; @bluestein_single_back_len1089_dim1_half_op_CI_CI
; %bb.0:
	s_load_dwordx4 s[16:19], s[4:5], 0x28
	v_mul_u32_u24_e32 v1, 0x21e, v0
	v_mov_b32_e32 v17, 0
	s_mov_b32 s0, exec_lo
	v_lshrrev_b32_e32 v1, 16, v1
	v_add_nc_u32_e32 v16, s6, v1
	s_waitcnt lgkmcnt(0)
	v_cmpx_gt_u64_e64 s[16:17], v[16:17]
	s_cbranch_execz .LBB0_18
; %bb.1:
	s_clause 0x1
	s_load_dwordx4 s[0:3], s[4:5], 0x18
	s_load_dwordx4 s[8:11], s[4:5], 0x0
	v_mul_lo_u16 v1, 0x79, v1
	v_mov_b32_e32 v15, 2
                                        ; implicit-def: $vgpr56
                                        ; implicit-def: $vgpr57
                                        ; implicit-def: $vgpr58
	v_sub_nc_u16 v10, v0, v1
	v_and_b32_e32 v44, 0xffff, v10
	v_mul_lo_u16 v17, v10, 3
	v_lshlrev_b32_e32 v37, 2, v44
	v_lshlrev_b32_sdwa v52, v15, v17 dst_sel:DWORD dst_unused:UNUSED_PAD src0_sel:DWORD src1_sel:WORD_0
	s_waitcnt lgkmcnt(0)
	s_load_dwordx4 s[12:15], s[0:1], 0x0
	s_clause 0x1
	global_load_dword v47, v37, s[8:9]
	global_load_dword v46, v37, s[8:9] offset:1452
	v_add_nc_u32_e32 v18, 0x600, v37
	s_waitcnt lgkmcnt(0)
	v_mad_u64_u32 v[0:1], null, s14, v16, 0
	v_mad_u64_u32 v[2:3], null, s12, v44, 0
	s_mul_i32 s0, s13, 0x5ac
	s_mul_hi_u32 s1, s12, 0x5ac
	s_mul_i32 s6, s12, 0x5ac
	s_add_i32 s1, s1, s0
	v_add_co_u32 v8, s0, s8, v37
	v_mad_u64_u32 v[4:5], null, s15, v16, v[1:2]
	v_add_co_ci_u32_e64 v9, null, s9, 0, s0
	s_mul_i32 s0, s13, 0xfffff68c
	s_sub_i32 s0, s0, s12
	v_mad_u64_u32 v[5:6], null, s13, v44, v[3:4]
	v_mov_b32_e32 v1, v4
	v_lshlrev_b64 v[0:1], 2, v[0:1]
	v_mov_b32_e32 v3, v5
	v_add_co_u32 v0, vcc_lo, s18, v0
	v_lshlrev_b64 v[2:3], 2, v[2:3]
	v_add_co_ci_u32_e32 v1, vcc_lo, s19, v1, vcc_lo
	v_add_co_u32 v0, vcc_lo, v0, v2
	v_add_co_ci_u32_e32 v1, vcc_lo, v1, v3, vcc_lo
	v_add_co_u32 v2, vcc_lo, v0, s6
	v_add_co_ci_u32_e32 v3, vcc_lo, s1, v1, vcc_lo
	s_clause 0x1
	global_load_dword v11, v[0:1], off
	global_load_dword v12, v[2:3], off
	v_add_co_u32 v4, vcc_lo, v2, s6
	v_add_co_ci_u32_e32 v5, vcc_lo, s1, v3, vcc_lo
	v_add_co_u32 v0, vcc_lo, 0x800, v8
	v_add_co_ci_u32_e32 v1, vcc_lo, 0, v9, vcc_lo
	v_mad_u64_u32 v[6:7], null, 0xfffff68c, s12, v[4:5]
	global_load_dword v8, v[4:5], off
	global_load_dword v45, v[0:1], off offset:856
	v_add_nc_u32_e32 v7, s0, v7
	v_add_co_u32 v2, vcc_lo, v6, s6
	global_load_dword v9, v[6:7], off
	v_add_co_ci_u32_e32 v3, vcc_lo, s1, v7, vcc_lo
	v_add_co_u32 v4, vcc_lo, v2, s6
	s_clause 0x1
	global_load_dword v43, v37, s[8:9] offset:484
	global_load_dword v42, v37, s[8:9] offset:1936
	global_load_dword v13, v[2:3], off
	global_load_dword v41, v[0:1], off offset:1340
	v_add_co_ci_u32_e32 v5, vcc_lo, s1, v3, vcc_lo
	v_mad_u64_u32 v[6:7], null, 0xfffff68c, s12, v[4:5]
	global_load_dword v14, v[4:5], off
	s_load_dwordx2 s[12:13], s[4:5], 0x38
	v_add_nc_u32_e32 v7, s0, v7
	v_add_co_u32 v2, vcc_lo, v6, s6
	v_add_co_ci_u32_e32 v3, vcc_lo, s1, v7, vcc_lo
	v_add_co_u32 v4, vcc_lo, v2, s6
	global_load_dword v6, v[6:7], off
	v_add_co_ci_u32_e32 v5, vcc_lo, s1, v3, vcc_lo
	global_load_dword v40, v37, s[8:9] offset:968
	global_load_dword v2, v[2:3], off
	global_load_dword v3, v[4:5], off
	s_clause 0x1
	global_load_dword v38, v[0:1], off offset:1824
	global_load_dword v39, v[0:1], off offset:372
	v_add_nc_u32_e32 v1, 0x200, v37
	v_add_nc_u32_e32 v7, 0xa00, v37
	;; [unrolled: 1-line block ×3, first 2 shown]
	s_load_dwordx4 s[4:7], s[2:3], 0x0
	v_cmp_gt_u16_e32 vcc_lo, 0x63, v10
	s_waitcnt vmcnt(15)
	v_lshrrev_b32_e32 v5, 16, v11
	s_waitcnt vmcnt(14)
	v_lshrrev_b32_e32 v4, 16, v12
	v_mul_f16_sdwa v19, v46, v12 dst_sel:DWORD dst_unused:UNUSED_PAD src0_sel:WORD_1 src1_sel:DWORD
	v_mul_f16_sdwa v20, v47, v11 dst_sel:DWORD dst_unused:UNUSED_PAD src0_sel:WORD_1 src1_sel:DWORD
	;; [unrolled: 1-line block ×4, first 2 shown]
	v_fma_f16 v4, v46, v4, -v19
	v_fma_f16 v5, v47, v5, -v20
	v_fmac_f16_e32 v22, v47, v11
	v_fmac_f16_e32 v21, v46, v12
	s_waitcnt vmcnt(13)
	v_lshrrev_b32_e32 v23, 16, v8
	s_waitcnt vmcnt(12)
	v_mul_f16_sdwa v19, v45, v8 dst_sel:DWORD dst_unused:UNUSED_PAD src0_sel:WORD_1 src1_sel:DWORD
	v_pack_b32_f16 v5, v22, v5
	v_pack_b32_f16 v4, v21, v4
	v_mul_f16_sdwa v12, v45, v23 dst_sel:DWORD dst_unused:UNUSED_PAD src0_sel:WORD_1 src1_sel:DWORD
	v_fma_f16 v11, v45, v23, -v19
	ds_write_b32 v37, v4 offset:1452
	v_fmac_f16_e32 v12, v45, v8
	s_waitcnt vmcnt(11)
	v_lshrrev_b32_e32 v19, 16, v9
	s_waitcnt vmcnt(10)
	v_mul_f16_sdwa v8, v43, v9 dst_sel:DWORD dst_unused:UNUSED_PAD src0_sel:WORD_1 src1_sel:DWORD
	v_pack_b32_f16 v11, v12, v11
	v_mul_f16_sdwa v4, v43, v19 dst_sel:DWORD dst_unused:UNUSED_PAD src0_sel:WORD_1 src1_sel:DWORD
	s_waitcnt vmcnt(8)
	v_lshrrev_b32_e32 v12, 16, v13
	v_mul_f16_sdwa v20, v42, v13 dst_sel:DWORD dst_unused:UNUSED_PAD src0_sel:WORD_1 src1_sel:DWORD
	v_fma_f16 v8, v43, v19, -v8
	v_fmac_f16_e32 v4, v43, v9
	v_mul_f16_sdwa v19, v42, v12 dst_sel:DWORD dst_unused:UNUSED_PAD src0_sel:WORD_1 src1_sel:DWORD
	v_fma_f16 v12, v42, v12, -v20
	s_waitcnt vmcnt(6)
	v_lshrrev_b32_e32 v9, 16, v14
	v_mul_f16_sdwa v20, v41, v14 dst_sel:DWORD dst_unused:UNUSED_PAD src0_sel:WORD_1 src1_sel:DWORD
	v_pack_b32_f16 v4, v4, v8
	v_fmac_f16_e32 v19, v42, v13
	v_mul_f16_sdwa v8, v41, v9 dst_sel:DWORD dst_unused:UNUSED_PAD src0_sel:WORD_1 src1_sel:DWORD
	v_fma_f16 v9, v41, v9, -v20
	v_fmac_f16_e32 v8, v41, v14
	s_waitcnt vmcnt(5)
	v_lshrrev_b32_e32 v13, 16, v6
	s_waitcnt vmcnt(4)
	v_mul_f16_sdwa v20, v40, v6 dst_sel:DWORD dst_unused:UNUSED_PAD src0_sel:WORD_1 src1_sel:DWORD
	s_waitcnt vmcnt(3)
	v_lshrrev_b32_e32 v14, 16, v2
	s_waitcnt vmcnt(2)
	v_lshrrev_b32_e32 v22, 16, v3
	s_waitcnt vmcnt(1)
	v_mul_f16_sdwa v24, v38, v3 dst_sel:DWORD dst_unused:UNUSED_PAD src0_sel:WORD_1 src1_sel:DWORD
	v_mul_f16_sdwa v21, v40, v13 dst_sel:DWORD dst_unused:UNUSED_PAD src0_sel:WORD_1 src1_sel:DWORD
	v_fma_f16 v13, v40, v13, -v20
	s_waitcnt vmcnt(0)
	v_mul_f16_sdwa v20, v39, v2 dst_sel:DWORD dst_unused:UNUSED_PAD src0_sel:WORD_1 src1_sel:DWORD
	v_mul_f16_sdwa v23, v39, v14 dst_sel:DWORD dst_unused:UNUSED_PAD src0_sel:WORD_1 src1_sel:DWORD
	;; [unrolled: 1-line block ×3, first 2 shown]
	v_fmac_f16_e32 v21, v40, v6
	v_pack_b32_f16 v8, v8, v9
	v_fma_f16 v6, v39, v14, -v20
	v_fmac_f16_e32 v23, v39, v2
	v_fma_f16 v2, v38, v22, -v24
	v_fmac_f16_e32 v25, v38, v3
	v_pack_b32_f16 v9, v21, v13
	v_pack_b32_f16 v3, v19, v12
	;; [unrolled: 1-line block ×3, first 2 shown]
	v_add_co_u32 v21, s0, 0x79, v44
	v_pack_b32_f16 v2, v25, v2
	ds_write_b32 v37, v11 offset:2904
	ds_write2_b32 v37, v5, v4 offset1:121
	ds_write_b32 v37, v9 offset:968
	ds_write2_b32 v18, v3, v6 offset0:100 offset1:221
	ds_write2_b32 v0, v8, v2 offset0:79 offset1:200
	s_waitcnt lgkmcnt(0)
	s_barrier
	buffer_gl0_inv
	ds_read2_b32 v[2:3], v37 offset1:121
	ds_read2_b32 v[4:5], v1 offset0:114 offset1:235
	ds_read2_b32 v[6:7], v7 offset0:86 offset1:207
	;; [unrolled: 1-line block ×3, first 2 shown]
	ds_read_b32 v12, v37 offset:3872
	v_add_co_ci_u32_e64 v11, null, 0, 0, s0
	v_add_co_u32 v22, s0, 0xf2, v44
	v_add_co_ci_u32_e64 v11, null, 0, 0, s0
	v_mul_u32_u24_e32 v11, 3, v21
	v_mul_u32_u24_e32 v13, 3, v22
	s_waitcnt lgkmcnt(0)
	s_barrier
	buffer_gl0_inv
	v_lshlrev_b32_e32 v51, 2, v11
	v_lshlrev_b32_e32 v50, 2, v13
	v_pk_add_f16 v10, v2, v5
	v_pk_add_f16 v11, v5, v6
	v_pk_add_f16 v5, v5, v6 neg_lo:[0,1] neg_hi:[0,1]
	v_pk_add_f16 v13, v3, v8
	v_pk_add_f16 v14, v8, v7
	v_pk_add_f16 v15, v8, v7 neg_lo:[0,1] neg_hi:[0,1]
	;; [unrolled: 3-line block ×3, first 2 shown]
	v_pk_add_f16 v8, v10, v6
	v_pk_fma_f16 v2, v11, 0.5, v2 op_sel_hi:[1,0,1] neg_lo:[1,0,0] neg_hi:[1,0,0]
	v_pk_mul_f16 v5, 0x3aee, v5 op_sel_hi:[0,1]
	v_pk_add_f16 v11, v13, v7
	v_pk_fma_f16 v3, v14, 0.5, v3 op_sel_hi:[1,0,1] neg_lo:[1,0,0] neg_hi:[1,0,0]
	v_pk_mul_f16 v6, 0x3aee, v15 op_sel_hi:[0,1]
	v_pk_fma_f16 v4, v18, 0.5, v4 op_sel_hi:[1,0,1] neg_lo:[1,0,0] neg_hi:[1,0,0]
	v_pk_mul_f16 v7, 0x3aee, v9 op_sel_hi:[0,1]
	v_pk_add_f16 v14, v17, v12
	v_pk_add_f16 v9, v2, v5 op_sel:[0,1] op_sel_hi:[1,0]
	v_pk_add_f16 v36, v2, v5 op_sel:[0,1] op_sel_hi:[1,0] neg_lo:[0,1] neg_hi:[0,1]
	v_pk_add_f16 v19, v3, v6 op_sel:[0,1] op_sel_hi:[1,0]
	v_pk_add_f16 v15, v4, v7 op_sel:[0,1] op_sel_hi:[1,0]
	v_pk_add_f16 v12, v4, v7 op_sel:[0,1] op_sel_hi:[1,0] neg_lo:[0,1] neg_hi:[0,1]
	v_pk_add_f16 v26, v3, v6 op_sel:[0,1] op_sel_hi:[1,0] neg_lo:[0,1] neg_hi:[0,1]
	v_lshrrev_b32_e32 v33, 16, v9
	v_lshrrev_b32_e32 v31, 16, v19
	v_bfi_b32 v2, 0xffff, v36, v9
	v_bfi_b32 v3, 0xffff, v9, v36
	v_lshrrev_b32_e32 v28, 16, v15
	v_lshrrev_b32_e32 v53, 16, v12
	v_bfi_b32 v4, 0xffff, v26, v19
	v_bfi_b32 v5, 0xffff, v19, v26
	;; [unrolled: 1-line block ×4, first 2 shown]
	ds_write_b32 v52, v8
	ds_write2_b32 v52, v3, v2 offset0:1 offset1:2
	ds_write_b32 v51, v11
	ds_write2_b32 v51, v5, v4 offset0:1 offset1:2
	ds_write_b32 v50, v14
	ds_write2_b32 v50, v7, v6 offset0:1 offset1:2
	s_waitcnt lgkmcnt(0)
	s_barrier
	buffer_gl0_inv
	s_and_saveexec_b32 s0, vcc_lo
	s_cbranch_execz .LBB0_3
; %bb.2:
	ds_read2_b32 v[10:11], v1 offset0:70 offset1:169
	v_add_nc_u32_e32 v1, 0x400, v37
	v_add_nc_u32_e32 v2, 0x800, v37
	ds_read2_b32 v[12:13], v0 offset0:24 offset1:123
	ds_read_b32 v57, v37 offset:3960
	ds_read2_b32 v[19:20], v1 offset0:140 offset1:239
	ds_read2_b32 v[14:15], v2 offset0:82 offset1:181
	ds_read2_b32 v[8:9], v37 offset1:99
	s_waitcnt lgkmcnt(4)
	v_lshrrev_b32_e32 v28, 16, v12
	v_lshrrev_b32_e32 v33, 16, v10
	;; [unrolled: 1-line block ×3, first 2 shown]
	s_waitcnt lgkmcnt(3)
	v_lshrrev_b32_e32 v58, 16, v57
	s_waitcnt lgkmcnt(2)
	v_lshrrev_b32_e32 v31, 16, v20
	;; [unrolled: 2-line block ×3, first 2 shown]
	v_bfi_b32 v26, 0xffff, v20, v19
	s_waitcnt lgkmcnt(0)
	v_bfi_b32 v36, 0xffff, v10, v9
.LBB0_3:
	s_or_b32 exec_lo, exec_lo, s0
	v_and_b32_e32 v10, 0xff, v44
	v_lshrrev_b32_e32 v54, 16, v36
	v_lshrrev_b32_e32 v55, 16, v11
	;; [unrolled: 1-line block ×4, first 2 shown]
	v_mul_lo_u16 v0, 0xab, v10
	v_lshrrev_b16 v49, 9, v0
	v_mul_lo_u16 v0, v49, 3
	v_sub_nc_u16 v0, v44, v0
	v_and_b32_e32 v48, 0xff, v0
	v_mul_u32_u24_e32 v0, 10, v48
	v_lshlrev_b32_e32 v17, 2, v0
	s_clause 0x2
	global_load_dwordx4 v[4:7], v17, s[10:11]
	global_load_dwordx4 v[0:3], v17, s[10:11] offset:16
	global_load_dwordx2 v[17:18], v17, s[10:11] offset:32
	s_waitcnt vmcnt(0)
	s_barrier
	buffer_gl0_inv
	v_mul_f16_sdwa v60, v54, v4 dst_sel:DWORD dst_unused:UNUSED_PAD src0_sel:DWORD src1_sel:WORD_1
	v_mul_f16_sdwa v35, v9, v4 dst_sel:DWORD dst_unused:UNUSED_PAD src0_sel:DWORD src1_sel:WORD_1
	;; [unrolled: 1-line block ×10, first 2 shown]
	v_fma_f16 v64, v9, v4, -v60
	v_fmac_f16_e32 v35, v54, v4
	v_fma_f16 v60, v26, v0, -v67
	v_fma_f16 v26, v57, v18, -v72
	v_fmac_f16_e32 v20, v58, v18
	v_mul_f16_sdwa v62, v55, v6 dst_sel:DWORD dst_unused:UNUSED_PAD src0_sel:DWORD src1_sel:WORD_1
	v_mul_f16_sdwa v32, v11, v6 dst_sel:DWORD dst_unused:UNUSED_PAD src0_sel:DWORD src1_sel:WORD_1
	;; [unrolled: 1-line block ×5, first 2 shown]
	v_fma_f16 v63, v36, v5, -v61
	v_fmac_f16_e32 v34, v33, v5
	v_fma_f16 v33, v13, v17, -v71
	v_fmac_f16_e32 v23, v56, v17
	v_sub_f16_e32 v77, v64, v26
	v_sub_f16_e32 v67, v35, v20
	v_mul_f16_sdwa v66, v59, v7 dst_sel:DWORD dst_unused:UNUSED_PAD src0_sel:DWORD src1_sel:WORD_1
	v_mul_f16_sdwa v30, v19, v7 dst_sel:DWORD dst_unused:UNUSED_PAD src0_sel:DWORD src1_sel:WORD_1
	;; [unrolled: 1-line block ×3, first 2 shown]
	v_fma_f16 v62, v11, v6, -v62
	v_fmac_f16_e32 v32, v55, v6
	v_fmac_f16_e32 v25, v53, v2
	v_fma_f16 v53, v12, v3, -v70
	v_fmac_f16_e32 v24, v28, v3
	v_add_f16_e32 v9, v64, v26
	v_add_f16_e32 v12, v35, v20
	v_sub_f16_e32 v80, v63, v33
	v_sub_f16_e32 v74, v34, v23
	v_mul_f16_e32 v75, 0xb853, v67
	v_mul_f16_e32 v79, 0xb853, v77
	;; [unrolled: 1-line block ×4, first 2 shown]
	v_mul_f16_sdwa v68, v65, v1 dst_sel:DWORD dst_unused:UNUSED_PAD src0_sel:DWORD src1_sel:WORD_1
	v_mul_f16_sdwa v27, v14, v1 dst_sel:DWORD dst_unused:UNUSED_PAD src0_sel:DWORD src1_sel:WORD_1
	v_fma_f16 v61, v19, v7, -v66
	v_fmac_f16_e32 v30, v59, v7
	v_fma_f16 v54, v15, v2, -v69
	v_add_f16_e32 v11, v63, v33
	v_add_f16_e32 v13, v34, v23
	v_sub_f16_e32 v78, v32, v24
	v_sub_f16_e32 v90, v62, v53
	v_mul_f16_e32 v71, 0xbb47, v74
	v_mul_f16_e32 v73, 0xbb47, v80
	;; [unrolled: 1-line block ×4, first 2 shown]
	v_fmamk_f16 v56, v9, 0x3abb, v75
	v_fma_f16 v57, v12, 0x3abb, -v79
	v_fmamk_f16 v58, v9, 0x36a6, v89
	v_fma_f16 v59, v12, 0x36a6, -v92
	v_fmac_f16_e32 v29, v31, v0
	v_fma_f16 v55, v14, v1, -v68
	v_fmac_f16_e32 v27, v65, v1
	v_add_f16_e32 v14, v62, v53
	v_add_f16_e32 v19, v32, v24
	v_sub_f16_e32 v76, v30, v25
	v_sub_f16_e32 v93, v61, v54
	v_mul_f16_e32 v69, 0xbbeb, v78
	v_mul_f16_e32 v72, 0xbbeb, v90
	;; [unrolled: 1-line block ×4, first 2 shown]
	v_fmamk_f16 v95, v11, 0x36a6, v71
	v_fma_f16 v96, v13, 0x36a6, -v73
	v_fmamk_f16 v97, v11, 0xb93d, v86
	v_fma_f16 v98, v13, 0xb93d, -v91
	v_add_f16_e32 v56, v8, v56
	v_add_f16_sdwa v57, v8, v57 dst_sel:DWORD dst_unused:UNUSED_PAD src0_sel:WORD_1 src1_sel:DWORD
	v_add_f16_e32 v58, v8, v58
	v_add_f16_sdwa v59, v8, v59 dst_sel:DWORD dst_unused:UNUSED_PAD src0_sel:WORD_1 src1_sel:DWORD
	v_add_f16_e32 v15, v61, v54
	v_add_f16_e32 v28, v30, v25
	v_sub_f16_e32 v81, v29, v27
	v_sub_f16_e32 v94, v60, v55
	v_mul_f16_e32 v66, 0xba0c, v76
	v_mul_f16_e32 v70, 0xba0c, v93
	;; [unrolled: 1-line block ×4, first 2 shown]
	v_fmamk_f16 v99, v14, 0xb08e, v69
	v_fma_f16 v100, v19, 0xb08e, -v72
	v_fmamk_f16 v101, v14, 0xbbad, v84
	v_fma_f16 v102, v19, 0xbbad, -v87
	v_add_f16_e32 v56, v95, v56
	v_add_f16_e32 v57, v96, v57
	;; [unrolled: 1-line block ×6, first 2 shown]
	v_mul_f16_e32 v65, 0xb482, v81
	v_mul_f16_e32 v68, 0xb482, v94
	;; [unrolled: 1-line block ×4, first 2 shown]
	v_fmamk_f16 v103, v15, 0xb93d, v66
	v_fma_f16 v104, v28, 0xb93d, -v70
	v_fmamk_f16 v105, v15, 0xb08e, v82
	v_fma_f16 v106, v28, 0xb08e, -v85
	v_add_f16_e32 v56, v99, v56
	v_add_f16_e32 v57, v100, v57
	;; [unrolled: 1-line block ×4, first 2 shown]
	v_fmamk_f16 v107, v31, 0xbbad, v65
	v_fma_f16 v108, v36, 0xbbad, -v68
	v_fmamk_f16 v95, v31, 0x3abb, v83
	v_fma_f16 v96, v36, 0x3abb, -v88
	v_add_f16_e32 v56, v103, v56
	v_add_f16_e32 v57, v104, v57
	;; [unrolled: 1-line block ×8, first 2 shown]
	s_and_saveexec_b32 s0, vcc_lo
	s_cbranch_execz .LBB0_5
; %bb.4:
	v_mul_f16_e32 v95, 0xb482, v77
	v_mul_f16_e32 v99, 0x3853, v80
	;; [unrolled: 1-line block ×5, first 2 shown]
	v_fmamk_f16 v100, v12, 0xbbad, v95
	v_fmamk_f16 v104, v13, 0x3abb, v99
	;; [unrolled: 1-line block ×4, first 2 shown]
	v_mul_f16_e32 v112, 0xb482, v67
	v_add_f16_sdwa v100, v8, v100 dst_sel:DWORD dst_unused:UNUSED_PAD src0_sel:WORD_1 src1_sel:DWORD
	v_mul_f16_e32 v113, 0xba0c, v77
	v_fmamk_f16 v114, v36, 0xb08e, v110
	v_mul_f16_e32 v116, 0x3853, v74
	v_fma_f16 v115, v9, 0xbbad, -v112
	v_add_f16_e32 v100, v104, v100
	v_fmamk_f16 v117, v12, 0xb93d, v113
	v_mul_f16_e32 v119, 0xba0c, v78
	v_fma_f16 v118, v11, 0x3abb, -v116
	v_add_f16_e32 v115, v8, v115
	v_add_f16_e32 v100, v108, v100
	v_add_f16_sdwa v117, v8, v117 dst_sel:DWORD dst_unused:UNUSED_PAD src0_sel:WORD_1 src1_sel:DWORD
	v_mul_f16_e32 v121, 0xb853, v90
	v_mul_f16_e32 v122, 0x3b47, v76
	v_add_f16_e32 v115, v118, v115
	v_add_f16_e32 v100, v111, v100
	v_fma_f16 v118, v14, 0xb93d, -v119
	v_mul_f16_e32 v123, 0xb482, v93
	v_mul_f16_e32 v97, 0x3abb, v12
	;; [unrolled: 1-line block ×3, first 2 shown]
	v_add_f16_e32 v100, v114, v100
	v_mul_f16_e32 v114, 0x3beb, v80
	v_add_f16_e32 v115, v118, v115
	v_fma_f16 v118, v15, 0x36a6, -v122
	v_mul_f16_e32 v125, 0x3b47, v94
	v_mul_f16_e32 v101, 0x36a6, v12
	v_fmamk_f16 v120, v13, 0xb08e, v114
	v_mul_f16_e32 v105, 0x36a6, v13
	v_add_f16_e32 v79, v79, v97
	v_add_f16_e32 v64, v8, v64
	v_add_f16_sdwa v35, v8, v35 dst_sel:DWORD dst_unused:UNUSED_PAD src0_sel:WORD_1 src1_sel:DWORD
	v_add_f16_e32 v117, v120, v117
	v_fmamk_f16 v120, v19, 0x3abb, v121
	v_add_f16_e32 v115, v118, v115
	v_fma_f16 v118, v31, 0xb08e, -v124
	v_mul_f16_e32 v126, 0xba0c, v67
	v_mul_f16_e32 v77, 0xbbeb, v77
	v_add_f16_e32 v117, v120, v117
	v_fmamk_f16 v120, v28, 0xbbad, v123
	v_mul_f16_e32 v104, 0xb93d, v13
	v_mul_f16_e32 v108, 0xb08e, v19
	v_add_f16_e32 v92, v92, v101
	v_add_f16_sdwa v79, v8, v79 dst_sel:DWORD dst_unused:UNUSED_PAD src0_sel:WORD_1 src1_sel:DWORD
	v_add_f16_e32 v117, v120, v117
	v_fmamk_f16 v120, v36, 0x36a6, v125
	v_add_f16_e32 v63, v64, v63
	v_add_f16_e32 v64, v73, v105
	v_add_f16_e32 v34, v35, v34
	v_add_f16_e32 v115, v118, v115
	v_fma_f16 v118, v9, 0xb93d, -v126
	v_mul_f16_e32 v127, 0x3beb, v74
	v_add_f16_e32 v117, v120, v117
	v_fmamk_f16 v120, v12, 0xb08e, v77
	v_mul_f16_e32 v80, 0x3482, v80
	v_mul_f16_e32 v101, 0xb93d, v28
	v_add_f16_e32 v91, v91, v104
	v_add_f16_sdwa v92, v8, v92 dst_sel:DWORD dst_unused:UNUSED_PAD src0_sel:WORD_1 src1_sel:DWORD
	v_add_f16_e32 v62, v63, v62
	v_add_f16_e32 v35, v64, v79
	;; [unrolled: 1-line block ×5, first 2 shown]
	v_fma_f16 v128, v11, 0xb08e, -v127
	v_mul_f16_e32 v129, 0xb853, v78
	v_add_f16_sdwa v120, v8, v120 dst_sel:DWORD dst_unused:UNUSED_PAD src0_sel:WORD_1 src1_sel:DWORD
	v_fmamk_f16 v130, v13, 0xbbad, v80
	v_mul_f16_e32 v90, 0x3b47, v90
	v_add_f16_e32 v91, v91, v92
	v_mul_f16_e32 v92, 0xbbad, v36
	v_add_f16_e32 v61, v62, v61
	v_add_f16_e32 v35, v63, v35
	;; [unrolled: 1-line block ×5, first 2 shown]
	v_fma_f16 v128, v14, 0x3abb, -v129
	v_mul_f16_e32 v131, 0xb482, v76
	v_add_f16_e32 v120, v130, v120
	v_fmamk_f16 v130, v19, 0x36a6, v90
	v_mul_f16_e32 v93, 0xb853, v93
	v_add_f16_e32 v35, v62, v35
	v_add_f16_e32 v29, v30, v29
	;; [unrolled: 1-line block ×3, first 2 shown]
	v_mul_f16_e32 v96, 0x3abb, v9
	v_add_f16_e32 v118, v128, v118
	v_fma_f16 v128, v15, 0xbbad, -v131
	v_mul_f16_e32 v132, 0x3b47, v81
	v_add_f16_e32 v120, v130, v120
	v_fmamk_f16 v130, v28, 0x3abb, v93
	v_mul_f16_e32 v94, 0xba0c, v94
	v_mul_f16_e32 v67, 0xbbeb, v67
	v_add_f16_e32 v27, v29, v27
	v_add_f16_e32 v29, v30, v35
	v_fma_f16 v30, v12, 0xbbad, -v95
	v_mul_f16_e32 v102, 0x36a6, v11
	v_add_f16_e32 v118, v128, v118
	v_fma_f16 v128, v31, 0x36a6, -v132
	v_add_f16_e32 v120, v130, v120
	v_fmamk_f16 v130, v36, 0xb93d, v94
	v_fma_f16 v133, v9, 0xb08e, -v67
	v_mul_f16_e32 v74, 0x3482, v74
	v_sub_f16_e32 v75, v96, v75
	v_add_f16_e32 v25, v27, v25
	v_fmac_f16_e32 v112, 0xbbad, v9
	v_add_f16_sdwa v27, v8, v30 dst_sel:DWORD dst_unused:UNUSED_PAD src0_sel:WORD_1 src1_sel:DWORD
	v_fma_f16 v30, v13, 0x3abb, -v99
	v_mul_f16_e32 v109, 0xb08e, v14
	v_add_f16_e32 v118, v128, v118
	v_add_f16_e32 v120, v130, v120
	;; [unrolled: 1-line block ×3, first 2 shown]
	v_fma_f16 v130, v11, 0xbbad, -v74
	v_mul_f16_e32 v78, 0x3b47, v78
	v_add_f16_e32 v73, v8, v75
	v_sub_f16_e32 v71, v102, v71
	v_add_f16_e32 v24, v25, v24
	v_add_f16_e32 v25, v8, v112
	v_fmac_f16_e32 v116, 0x3abb, v11
	v_add_f16_e32 v27, v30, v27
	v_fma_f16 v30, v19, 0xb93d, -v103
	v_mul_f16_e32 v98, 0x36a6, v9
	v_mul_f16_e32 v133, 0xb93d, v15
	v_add_f16_e32 v128, v130, v128
	v_fma_f16 v130, v14, 0x36a6, -v78
	v_add_f16_e32 v64, v71, v73
	v_sub_f16_e32 v34, v109, v69
	v_add_f16_e32 v60, v61, v60
	v_add_f16_e32 v23, v24, v23
	;; [unrolled: 1-line block ×3, first 2 shown]
	v_fmac_f16_e32 v119, 0xb93d, v14
	v_add_f16_e32 v25, v30, v27
	v_fma_f16 v27, v28, 0x36a6, -v107
	v_fma_f16 v30, v12, 0xb93d, -v113
	v_mul_f16_e32 v106, 0xb93d, v11
	v_sub_f16_e32 v89, v98, v89
	v_add_f16_e32 v128, v130, v128
	v_mul_f16_e32 v130, 0xbbad, v31
	v_add_f16_e32 v32, v34, v64
	v_sub_f16_e32 v34, v133, v66
	v_add_f16_e32 v55, v60, v55
	v_fma_f16 v12, v12, 0xb08e, -v77
	v_add_f16_e32 v20, v23, v20
	v_add_f16_e32 v23, v119, v24
	;; [unrolled: 1-line block ×3, first 2 shown]
	v_add_f16_sdwa v25, v8, v30 dst_sel:DWORD dst_unused:UNUSED_PAD src0_sel:WORD_1 src1_sel:DWORD
	v_fma_f16 v27, v13, 0xb08e, -v114
	v_fma_f16 v30, v36, 0xb08e, -v110
	v_fmac_f16_e32 v126, 0xb93d, v9
	v_fmac_f16_e32 v67, 0xb08e, v9
	v_mul_f16_e32 v111, 0xbbad, v14
	v_mul_f16_e32 v134, 0xbbad, v19
	v_add_f16_e32 v89, v8, v89
	v_sub_f16_e32 v86, v106, v86
	v_add_f16_e32 v32, v34, v32
	v_sub_f16_e32 v34, v130, v65
	v_add_f16_e32 v54, v55, v54
	v_add_f16_sdwa v12, v8, v12 dst_sel:DWORD dst_unused:UNUSED_PAD src0_sel:WORD_1 src1_sel:DWORD
	v_fma_f16 v13, v13, 0xbbad, -v80
	v_add_f16_e32 v25, v27, v25
	v_fma_f16 v27, v19, 0x3abb, -v121
	v_add_f16_e32 v24, v30, v24
	v_add_f16_e32 v30, v8, v126
	v_fmac_f16_e32 v127, 0xb08e, v11
	v_add_f16_e32 v8, v8, v67
	v_fmac_f16_e32 v74, 0xbbad, v11
	v_mul_f16_e32 v104, 0xb08e, v15
	v_mul_f16_e32 v98, 0xb08e, v28
	;; [unrolled: 1-line block ×3, first 2 shown]
	v_add_f16_e32 v87, v87, v134
	v_add_f16_e32 v86, v86, v89
	v_sub_f16_e32 v84, v111, v84
	v_add_f16_e32 v32, v34, v32
	v_add_f16_e32 v34, v54, v53
	;; [unrolled: 1-line block ×3, first 2 shown]
	v_fma_f16 v12, v19, 0x36a6, -v90
	v_add_f16_e32 v25, v27, v25
	v_fma_f16 v27, v28, 0xbbad, -v123
	v_add_f16_e32 v30, v127, v30
	v_fmac_f16_e32 v129, 0x3abb, v14
	v_add_f16_e32 v8, v74, v8
	v_fmac_f16_e32 v78, 0x36a6, v14
	v_mul_f16_e32 v106, 0x3abb, v31
	v_mul_f16_e32 v134, 0x3abb, v36
	v_fma_f16 v89, v15, 0x3abb, -v76
	v_mul_f16_e32 v81, 0xba0c, v81
	v_add_f16_e32 v87, v87, v91
	v_add_f16_e32 v85, v85, v98
	;; [unrolled: 1-line block ×3, first 2 shown]
	v_sub_f16_e32 v82, v104, v82
	v_add_f16_e32 v33, v34, v33
	v_add_f16_e32 v11, v12, v11
	v_mov_b32_e32 v12, 33
	v_fmac_f16_e32 v122, 0x36a6, v15
	v_add_f16_e32 v9, v27, v25
	v_add_f16_e32 v25, v129, v30
	v_fmac_f16_e32 v131, 0xbbad, v15
	v_fma_f16 v19, v28, 0x3abb, -v93
	v_add_f16_e32 v8, v78, v8
	v_fmac_f16_e32 v76, 0x3abb, v15
	v_add_f16_e32 v86, v89, v128
	v_fma_f16 v89, v31, 0xb93d, -v81
	v_add_f16_e32 v85, v85, v87
	v_add_f16_e32 v87, v88, v134
	;; [unrolled: 1-line block ×3, first 2 shown]
	v_sub_f16_e32 v83, v106, v83
	v_add_f16_e32 v26, v33, v26
	v_mul_u32_u24_sdwa v12, v49, v12 dst_sel:DWORD dst_unused:UNUSED_PAD src0_sel:WORD_0 src1_sel:DWORD
	v_add_f16_e32 v23, v122, v23
	v_fmac_f16_e32 v124, 0xb08e, v31
	v_fma_f16 v13, v36, 0x36a6, -v125
	v_add_f16_e32 v14, v131, v25
	v_fmac_f16_e32 v132, 0x36a6, v31
	v_add_f16_e32 v11, v19, v11
	v_fma_f16 v15, v36, 0xb93d, -v94
	v_add_f16_e32 v8, v76, v8
	v_fmac_f16_e32 v81, 0xb93d, v31
	v_add_f16_e32 v84, v89, v86
	v_add_f16_e32 v85, v87, v85
	v_add_f16_e32 v82, v83, v82
	v_add_lshl_u32 v12, v12, v48, 2
	v_pack_b32_f16 v19, v26, v20
	v_pack_b32_f16 v20, v32, v29
	v_add_f16_e32 v23, v124, v23
	v_add_f16_e32 v9, v13, v9
	v_add_f16_e32 v13, v132, v14
	v_add_f16_e32 v11, v15, v11
	v_add_f16_e32 v8, v81, v8
	v_pack_b32_f16 v14, v82, v85
	v_pack_b32_f16 v15, v84, v120
	ds_write2_b32 v12, v19, v20 offset1:3
	v_pack_b32_f16 v19, v118, v117
	v_pack_b32_f16 v20, v115, v100
	;; [unrolled: 1-line block ×5, first 2 shown]
	v_perm_b32 v11, v58, v59, 0x5040100
	v_perm_b32 v13, v57, v56, 0x5040100
	ds_write2_b32 v12, v14, v15 offset0:6 offset1:9
	ds_write2_b32 v12, v19, v20 offset0:12 offset1:15
	;; [unrolled: 1-line block ×4, first 2 shown]
	ds_write_b32 v12, v13 offset:120
.LBB0_5:
	s_or_b32 exec_lo, exec_lo, s0
	v_mul_lo_u16 v8, 0xf9, v10
	v_and_b32_e32 v9, 0xff, v21
	v_mov_b32_e32 v10, 0xf83f
	s_waitcnt lgkmcnt(0)
	s_barrier
	v_lshrrev_b16 v13, 13, v8
	v_mul_lo_u16 v8, 0xf9, v9
	v_mul_u32_u24_sdwa v9, v22, v10 dst_sel:DWORD dst_unused:UNUSED_PAD src0_sel:WORD_0 src1_sel:DWORD
	buffer_gl0_inv
	v_add_nc_u32_e32 v11, 0x600, v37
	v_mul_lo_u16 v10, v13, 33
	v_lshrrev_b16 v14, 13, v8
	v_lshrrev_b32_e32 v15, 21, v9
	ds_read2_b32 v[29:30], v37 offset1:121
	v_mov_b32_e32 v33, 0x63
	v_sub_nc_u16 v8, v44, v10
	v_mul_lo_u16 v9, v14, 33
	v_mul_lo_u16 v10, v15, 33
	v_mov_b32_e32 v34, 2
	v_mul_u32_u24_sdwa v13, v13, v33 dst_sel:DWORD dst_unused:UNUSED_PAD src0_sel:WORD_0 src1_sel:DWORD
	v_and_b32_e32 v25, 0xff, v8
	v_sub_nc_u16 v8, v21, v9
	v_sub_nc_u16 v26, v22, v10
	v_mul_u32_u24_sdwa v14, v14, v33 dst_sel:DWORD dst_unused:UNUSED_PAD src0_sel:WORD_0 src1_sel:DWORD
	v_lshlrev_b32_e32 v9, 3, v25
	v_and_b32_e32 v27, 0xff, v8
	v_lshlrev_b16 v8, 3, v26
	v_mad_u16 v15, 0x63, v15, v26
	v_add_lshl_u32 v55, v13, v25, 2
	global_load_dwordx2 v[23:24], v9, s[10:11] offset:120
	v_lshlrev_b32_e32 v9, 3, v27
	v_and_b32_e32 v8, 0xffff, v8
	v_add_lshl_u32 v54, v14, v27, 2
	v_lshlrev_b32_sdwa v53, v34, v15 dst_sel:DWORD dst_unused:UNUSED_PAD src0_sel:DWORD src1_sel:WORD_0
	s_waitcnt lgkmcnt(0)
	v_lshrrev_b32_e32 v64, 16, v29
	global_load_dwordx2 v[21:22], v9, s[10:11] offset:120
	v_add_co_u32 v8, s0, s10, v8
	v_add_co_ci_u32_e64 v9, null, s11, 0, s0
	v_lshrrev_b32_e32 v61, 16, v30
	global_load_dwordx2 v[19:20], v[8:9], off offset:120
	v_add_nc_u32_e32 v8, 0x200, v37
	v_add_nc_u32_e32 v9, 0xa00, v37
	ds_read_b32 v28, v37 offset:3872
	ds_read2_b32 v[31:32], v8 offset0:114 offset1:235
	ds_read2_b32 v[9:10], v9 offset0:86 offset1:207
	;; [unrolled: 1-line block ×3, first 2 shown]
	s_waitcnt vmcnt(0) lgkmcnt(0)
	s_barrier
	buffer_gl0_inv
	v_lshrrev_b32_e32 v33, 16, v28
	v_lshrrev_b32_e32 v35, 16, v32
	;; [unrolled: 1-line block ×7, first 2 shown]
	v_mul_f16_sdwa v13, v35, v23 dst_sel:DWORD dst_unused:UNUSED_PAD src0_sel:DWORD src1_sel:WORD_1
	v_mul_f16_sdwa v14, v32, v23 dst_sel:DWORD dst_unused:UNUSED_PAD src0_sel:DWORD src1_sel:WORD_1
	;; [unrolled: 1-line block ×4, first 2 shown]
	v_fma_f16 v13, v32, v23, -v13
	v_fmac_f16_e32 v14, v35, v23
	v_fma_f16 v9, v9, v24, -v15
	v_mul_f16_sdwa v15, v60, v21 dst_sel:DWORD dst_unused:UNUSED_PAD src0_sel:DWORD src1_sel:WORD_1
	v_mul_f16_sdwa v32, v11, v21 dst_sel:DWORD dst_unused:UNUSED_PAD src0_sel:DWORD src1_sel:WORD_1
	;; [unrolled: 1-line block ×4, first 2 shown]
	v_fmac_f16_e32 v25, v36, v24
	v_fma_f16 v11, v11, v21, -v15
	v_fmac_f16_e32 v32, v60, v21
	v_fma_f16 v10, v10, v22, -v27
	v_fmac_f16_e32 v35, v62, v22
	v_mul_f16_sdwa v15, v26, v19 dst_sel:DWORD dst_unused:UNUSED_PAD src0_sel:DWORD src1_sel:WORD_1
	v_mul_f16_sdwa v36, v12, v19 dst_sel:DWORD dst_unused:UNUSED_PAD src0_sel:DWORD src1_sel:WORD_1
	;; [unrolled: 1-line block ×4, first 2 shown]
	v_add_f16_e32 v34, v29, v13
	v_add_f16_e32 v60, v13, v9
	v_sub_f16_e32 v63, v14, v25
	v_add_f16_e32 v65, v64, v14
	v_add_f16_e32 v14, v14, v25
	v_sub_f16_e32 v13, v13, v9
	v_fma_f16 v12, v12, v19, -v15
	v_fmac_f16_e32 v36, v26, v19
	v_fma_f16 v15, v28, v20, -v27
	v_fmac_f16_e32 v62, v33, v20
	v_add_f16_e32 v27, v34, v9
	v_add_f16_e32 v9, v30, v11
	v_add_f16_e32 v26, v61, v32
	v_fma_f16 v33, -0.5, v60, v29
	v_fmac_f16_e32 v64, -0.5, v14
	v_add_f16_e32 v14, v11, v10
	v_add_f16_e32 v29, v32, v35
	v_sub_f16_e32 v11, v11, v10
	v_add_f16_e32 v34, v9, v10
	v_add_f16_e32 v73, v26, v35
	;; [unrolled: 1-line block ×5, first 2 shown]
	v_sub_f16_e32 v25, v32, v35
	v_fmamk_f16 v28, v63, 0x3aee, v33
	v_fmamk_f16 v69, v13, 0xbaee, v64
	v_fmac_f16_e32 v30, -0.5, v14
	v_fmac_f16_e32 v61, -0.5, v29
	v_add_f16_e32 v9, v31, v12
	v_fmac_f16_e32 v64, 0x3aee, v13
	v_sub_f16_e32 v13, v36, v62
	v_add_f16_e32 v14, v74, v36
	v_sub_f16_e32 v12, v12, v15
	v_fmac_f16_e32 v31, -0.5, v10
	v_fmac_f16_e32 v74, -0.5, v26
	v_fmac_f16_e32 v33, 0xbaee, v63
	v_pack_b32_f16 v32, v27, v60
	v_fmamk_f16 v29, v25, 0x3aee, v30
	v_fmamk_f16 v75, v11, 0xbaee, v61
	v_add_f16_e32 v35, v9, v15
	v_pack_b32_f16 v9, v28, v69
	v_fmac_f16_e32 v30, 0xbaee, v25
	v_fmac_f16_e32 v61, 0x3aee, v11
	v_add_f16_e32 v82, v14, v62
	v_fmamk_f16 v36, v13, 0x3aee, v31
	v_fmamk_f16 v83, v12, 0xbaee, v74
	v_fmac_f16_e32 v31, 0xbaee, v13
	v_fmac_f16_e32 v74, 0x3aee, v12
	v_pack_b32_f16 v10, v33, v64
	v_pack_b32_f16 v11, v34, v73
	ds_write2_b32 v55, v32, v9 offset1:33
	v_pack_b32_f16 v9, v29, v75
	v_pack_b32_f16 v12, v30, v61
	;; [unrolled: 1-line block ×5, first 2 shown]
	ds_write_b32 v55, v10 offset:264
	ds_write2_b32 v54, v11, v9 offset1:33
	ds_write_b32 v54, v12 offset:264
	ds_write2_b32 v53, v13, v14 offset1:33
	ds_write_b32 v53, v15 offset:264
	s_waitcnt lgkmcnt(0)
	s_barrier
	buffer_gl0_inv
	s_and_saveexec_b32 s0, vcc_lo
	s_cbranch_execz .LBB0_7
; %bb.6:
	v_add_nc_u32_e32 v9, 0x400, v37
	ds_read2_b32 v[33:34], v8 offset0:70 offset1:169
	v_add_nc_u32_e32 v8, 0x800, v37
	v_add_nc_u32_e32 v10, 0xc00, v37
	ds_read2_b32 v[27:28], v37 offset1:99
	ds_read_b32 v56, v37 offset:3960
	ds_read2_b32 v[29:30], v9 offset0:140 offset1:239
	ds_read2_b32 v[35:36], v8 offset0:82 offset1:181
	;; [unrolled: 1-line block ×3, first 2 shown]
	s_waitcnt lgkmcnt(5)
	v_lshrrev_b32_e32 v64, 16, v33
	v_lshrrev_b32_e32 v73, 16, v34
	s_waitcnt lgkmcnt(3)
	v_lshrrev_b32_e32 v57, 16, v56
	v_lshrrev_b32_e32 v60, 16, v27
	;; [unrolled: 1-line block ×3, first 2 shown]
	s_waitcnt lgkmcnt(2)
	v_lshrrev_b32_e32 v75, 16, v29
	v_lshrrev_b32_e32 v61, 16, v30
	s_waitcnt lgkmcnt(1)
	v_lshrrev_b32_e32 v82, 16, v35
	v_lshrrev_b32_e32 v83, 16, v36
	;; [unrolled: 3-line block ×3, first 2 shown]
	v_mov_b32_e32 v59, v32
.LBB0_7:
	s_or_b32 exec_lo, exec_lo, s0
	v_add_nc_u32_e32 v8, 0xffffff9d, v44
	v_cndmask_b32_e32 v8, v8, v44, vcc_lo
	v_mul_i32_i24_e32 v9, 40, v8
	v_mul_hi_i32_i24_e32 v8, 40, v8
	v_add_co_u32 v25, s0, s10, v9
	v_add_co_ci_u32_e64 v26, s0, s11, v8, s0
	s_clause 0x2
	global_load_dwordx4 v[12:15], v[25:26], off offset:384
	global_load_dwordx4 v[8:11], v[25:26], off offset:400
	global_load_dwordx2 v[25:26], v[25:26], off offset:416
	s_waitcnt vmcnt(2)
	v_mul_f16_sdwa v76, v69, v12 dst_sel:DWORD dst_unused:UNUSED_PAD src0_sel:DWORD src1_sel:WORD_1
	v_mul_f16_sdwa v72, v28, v12 dst_sel:DWORD dst_unused:UNUSED_PAD src0_sel:DWORD src1_sel:WORD_1
	s_waitcnt vmcnt(0)
	v_mul_f16_sdwa v90, v57, v26 dst_sel:DWORD dst_unused:UNUSED_PAD src0_sel:DWORD src1_sel:WORD_1
	v_mul_f16_sdwa v32, v56, v26 dst_sel:DWORD dst_unused:UNUSED_PAD src0_sel:DWORD src1_sel:WORD_1
	;; [unrolled: 1-line block ×7, first 2 shown]
	v_fma_f16 v81, v28, v12, -v76
	v_fmac_f16_e32 v72, v69, v12
	v_fma_f16 v69, v56, v26, -v90
	v_fmac_f16_e32 v32, v57, v26
	v_mul_f16_sdwa v78, v73, v14 dst_sel:DWORD dst_unused:UNUSED_PAD src0_sel:DWORD src1_sel:WORD_1
	v_mul_f16_sdwa v70, v34, v14 dst_sel:DWORD dst_unused:UNUSED_PAD src0_sel:DWORD src1_sel:WORD_1
	;; [unrolled: 1-line block ×4, first 2 shown]
	v_fma_f16 v80, v33, v13, -v77
	v_fmac_f16_e32 v71, v64, v13
	v_fmac_f16_e32 v63, v74, v11
	v_fma_f16 v74, v59, v25, -v89
	v_fmac_f16_e32 v62, v58, v25
	v_sub_f16_e32 v100, v81, v69
	v_sub_f16_e32 v92, v72, v32
	v_mul_f16_sdwa v68, v29, v15 dst_sel:DWORD dst_unused:UNUSED_PAD src0_sel:DWORD src1_sel:WORD_1
	v_mul_f16_sdwa v85, v61, v8 dst_sel:DWORD dst_unused:UNUSED_PAD src0_sel:DWORD src1_sel:WORD_1
	;; [unrolled: 1-line block ×4, first 2 shown]
	v_fma_f16 v79, v34, v14, -v78
	v_fmac_f16_e32 v70, v73, v14
	v_fma_f16 v78, v29, v15, -v84
	v_fma_f16 v73, v31, v11, -v88
	v_add_f16_e32 v29, v81, v69
	v_add_f16_e32 v31, v72, v32
	v_sub_f16_e32 v107, v80, v74
	v_sub_f16_e32 v95, v71, v62
	v_mul_f16_e32 v89, 0xb853, v92
	v_mul_f16_e32 v91, 0xb853, v100
	;; [unrolled: 1-line block ×4, first 2 shown]
	v_mul_f16_sdwa v67, v30, v8 dst_sel:DWORD dst_unused:UNUSED_PAD src0_sel:DWORD src1_sel:WORD_1
	v_mul_f16_sdwa v86, v82, v9 dst_sel:DWORD dst_unused:UNUSED_PAD src0_sel:DWORD src1_sel:WORD_1
	;; [unrolled: 1-line block ×3, first 2 shown]
	v_fmac_f16_e32 v68, v75, v15
	v_fma_f16 v77, v30, v8, -v85
	v_fma_f16 v75, v36, v10, -v87
	v_fmac_f16_e32 v65, v83, v10
	v_add_f16_e32 v30, v80, v74
	v_add_f16_e32 v33, v71, v62
	v_sub_f16_e32 v109, v79, v73
	v_sub_f16_e32 v98, v70, v63
	v_mul_f16_e32 v87, 0xbb47, v95
	v_mul_f16_e32 v90, 0xbb47, v107
	;; [unrolled: 1-line block ×4, first 2 shown]
	v_fmamk_f16 v28, v29, 0x3abb, v89
	v_fma_f16 v56, v31, 0x3abb, -v91
	v_fmamk_f16 v57, v29, 0x36a6, v105
	v_fma_f16 v58, v31, 0x36a6, -v108
	v_fmac_f16_e32 v67, v61, v8
	v_fma_f16 v76, v35, v9, -v86
	v_fmac_f16_e32 v66, v82, v9
	v_add_f16_e32 v34, v79, v73
	v_add_f16_e32 v35, v70, v63
	v_sub_f16_e32 v110, v78, v75
	v_sub_f16_e32 v96, v68, v65
	v_mul_f16_e32 v85, 0xbbeb, v98
	v_mul_f16_e32 v88, 0xbbeb, v109
	;; [unrolled: 1-line block ×4, first 2 shown]
	v_fmamk_f16 v112, v30, 0x36a6, v87
	v_fma_f16 v113, v33, 0x36a6, -v90
	v_fmamk_f16 v114, v30, 0xb93d, v103
	v_fma_f16 v115, v33, 0xb93d, -v106
	v_add_f16_e32 v28, v27, v28
	v_add_f16_e32 v56, v60, v56
	;; [unrolled: 1-line block ×6, first 2 shown]
	v_sub_f16_e32 v111, v77, v76
	v_sub_f16_e32 v97, v67, v66
	v_mul_f16_e32 v83, 0xba0c, v96
	v_mul_f16_e32 v86, 0xba0c, v110
	;; [unrolled: 1-line block ×4, first 2 shown]
	v_fmamk_f16 v116, v34, 0xb08e, v85
	v_fma_f16 v117, v35, 0xb08e, -v88
	v_fmamk_f16 v118, v34, 0xbbad, v101
	v_fma_f16 v119, v35, 0xbbad, -v104
	v_add_f16_e32 v28, v112, v28
	v_add_f16_e32 v56, v113, v56
	;; [unrolled: 1-line block ×6, first 2 shown]
	v_mul_f16_e32 v82, 0xb482, v97
	v_mul_f16_e32 v84, 0xb482, v111
	;; [unrolled: 1-line block ×4, first 2 shown]
	v_fmamk_f16 v120, v36, 0xb93d, v83
	v_fma_f16 v121, v59, 0xb93d, -v86
	v_fmamk_f16 v122, v36, 0xb08e, v99
	v_fma_f16 v123, v59, 0xb08e, -v102
	v_add_f16_e32 v28, v116, v28
	v_add_f16_e32 v56, v117, v56
	;; [unrolled: 1-line block ×4, first 2 shown]
	v_fmamk_f16 v124, v61, 0xbbad, v82
	v_fma_f16 v125, v64, 0xbbad, -v84
	v_fmamk_f16 v112, v61, 0x3abb, v93
	v_fma_f16 v113, v64, 0x3abb, -v94
	v_add_f16_e32 v28, v120, v28
	v_add_f16_e32 v56, v121, v56
	;; [unrolled: 1-line block ×8, first 2 shown]
	s_and_saveexec_b32 s0, vcc_lo
	s_cbranch_execz .LBB0_9
; %bb.8:
	v_mul_f16_e32 v118, 0xb482, v100
	v_add_f16_e32 v81, v27, v81
	v_add_f16_e32 v72, v60, v72
	v_mul_f16_e32 v124, 0x3853, v107
	v_mul_f16_e32 v136, 0xb482, v92
	v_fmamk_f16 v123, v31, 0xbbad, v118
	v_mul_f16_e32 v141, 0xba0c, v100
	v_add_f16_e32 v80, v81, v80
	v_add_f16_e32 v71, v72, v71
	v_fmamk_f16 v128, v33, 0x3abb, v124
	v_add_f16_e32 v123, v60, v123
	v_mul_f16_e32 v129, 0xba0c, v109
	v_fma_f16 v139, v29, 0xbbad, -v136
	v_mul_f16_e32 v140, 0x3853, v95
	v_fmamk_f16 v145, v31, 0xb93d, v141
	v_mul_f16_e32 v146, 0x3beb, v107
	v_mul_f16_e32 v113, 0x3abb, v31
	v_add_f16_e32 v79, v80, v79
	v_add_f16_e32 v70, v71, v70
	;; [unrolled: 1-line block ×3, first 2 shown]
	v_fmamk_f16 v128, v35, 0xb93d, v129
	v_mul_f16_e32 v133, 0x3b47, v110
	v_add_f16_e32 v139, v27, v139
	v_fma_f16 v142, v30, 0x3abb, -v140
	v_mul_f16_e32 v143, 0xba0c, v98
	v_add_f16_e32 v145, v60, v145
	v_fmamk_f16 v148, v33, 0xb08e, v146
	v_mul_f16_e32 v149, 0xb853, v109
	v_mul_f16_e32 v112, 0x3abb, v29
	;; [unrolled: 1-line block ×3, first 2 shown]
	v_add_f16_e32 v91, v91, v113
	v_add_f16_e32 v78, v79, v78
	;; [unrolled: 1-line block ×4, first 2 shown]
	v_fmamk_f16 v128, v59, 0x36a6, v133
	v_add_f16_e32 v139, v142, v139
	v_fma_f16 v142, v34, 0xb93d, -v143
	v_mul_f16_e32 v147, 0x3b47, v96
	v_add_f16_e32 v145, v148, v145
	v_fmamk_f16 v148, v35, 0x3abb, v149
	v_mul_f16_e32 v151, 0xb482, v110
	v_mul_f16_e32 v116, 0x36a6, v30
	;; [unrolled: 1-line block ×3, first 2 shown]
	v_sub_f16_e32 v80, v112, v89
	v_add_f16_e32 v89, v60, v91
	v_add_f16_e32 v90, v90, v117
	;; [unrolled: 1-line block ×5, first 2 shown]
	v_mul_f16_e32 v128, 0xbbeb, v111
	v_add_f16_e32 v139, v142, v139
	v_fma_f16 v142, v36, 0x36a6, -v147
	v_mul_f16_e32 v150, 0xbbeb, v97
	v_add_f16_e32 v145, v148, v145
	v_fmamk_f16 v148, v59, 0xbbad, v151
	v_mul_f16_e32 v100, 0xbbeb, v100
	v_mul_f16_e32 v121, 0xb08e, v34
	v_mul_f16_e32 v130, 0xb93d, v59
	v_add_f16_e32 v72, v27, v80
	v_sub_f16_e32 v79, v116, v87
	v_add_f16_e32 v80, v90, v89
	v_add_f16_e32 v71, v88, v122
	;; [unrolled: 1-line block ×4, first 2 shown]
	v_fmamk_f16 v144, v64, 0xb08e, v128
	v_add_f16_e32 v139, v142, v139
	v_fma_f16 v142, v61, 0xb08e, -v150
	v_mul_f16_e32 v152, 0xba0c, v92
	v_add_f16_e32 v145, v148, v145
	v_mul_f16_e32 v148, 0x3b47, v111
	v_fmamk_f16 v156, v31, 0xb08e, v100
	v_mul_f16_e32 v107, 0x3482, v107
	v_mul_f16_e32 v127, 0xb93d, v36
	v_mul_f16_e32 v135, 0xbbad, v64
	v_add_f16_e32 v72, v79, v72
	v_sub_f16_e32 v78, v121, v85
	v_add_f16_e32 v70, v71, v80
	v_add_f16_e32 v71, v86, v130
	;; [unrolled: 1-line block ×4, first 2 shown]
	v_mul_f16_e32 v114, 0x36a6, v29
	v_mul_f16_e32 v115, 0x36a6, v31
	v_add_f16_e32 v123, v144, v123
	v_add_f16_e32 v139, v142, v139
	v_fma_f16 v142, v29, 0xb93d, -v152
	v_mul_f16_e32 v144, 0x3beb, v95
	v_fmamk_f16 v155, v64, 0x36a6, v148
	v_add_f16_e32 v156, v60, v156
	v_fmamk_f16 v158, v33, 0xbbad, v107
	v_mul_f16_e32 v92, 0xbbeb, v92
	v_mul_f16_e32 v134, 0xbbad, v61
	v_add_f16_e32 v72, v78, v72
	v_sub_f16_e32 v68, v127, v83
	v_add_f16_e32 v70, v71, v70
	v_add_f16_e32 v71, v84, v135
	;; [unrolled: 1-line block ×3, first 2 shown]
	v_fma_f16 v66, v31, 0xbbad, -v118
	v_add_f16_e32 v63, v65, v63
	v_mul_f16_e32 v119, 0xb93d, v30
	v_mul_f16_e32 v120, 0xb93d, v33
	v_add_f16_e32 v142, v27, v142
	v_fma_f16 v153, v30, 0xb08e, -v144
	v_mul_f16_e32 v154, 0xb853, v98
	v_add_f16_e32 v145, v155, v145
	v_add_f16_e32 v155, v158, v156
	v_fma_f16 v158, v29, 0xb08e, -v92
	v_mul_f16_e32 v95, 0x3482, v95
	v_add_f16_e32 v108, v108, v115
	v_sub_f16_e32 v105, v114, v105
	v_add_f16_e32 v67, v68, v72
	v_sub_f16_e32 v68, v134, v82
	v_add_f16_e32 v70, v71, v70
	v_add_f16_e32 v71, v73, v74
	v_fmac_f16_e32 v136, 0xbbad, v29
	v_add_f16_e32 v65, v60, v66
	v_fma_f16 v66, v33, 0x3abb, -v124
	v_add_f16_e32 v62, v63, v62
	v_fma_f16 v63, v31, 0xb93d, -v141
	v_fmac_f16_e32 v152, 0xb93d, v29
	v_fma_f16 v31, v31, 0xb08e, -v100
	v_fmac_f16_e32 v92, 0xb08e, v29
	v_mul_f16_e32 v125, 0xbbad, v34
	v_mul_f16_e32 v126, 0xbbad, v35
	v_add_f16_e32 v142, v153, v142
	v_fma_f16 v153, v34, 0x3abb, -v154
	v_mul_f16_e32 v157, 0xb482, v96
	v_mul_f16_e32 v109, 0x3b47, v109
	v_add_f16_e32 v158, v27, v158
	v_fma_f16 v160, v30, 0xbbad, -v95
	v_mul_f16_e32 v98, 0x3b47, v98
	v_add_f16_e32 v108, v60, v108
	v_add_f16_e32 v106, v106, v120
	;; [unrolled: 1-line block ×3, first 2 shown]
	v_sub_f16_e32 v103, v119, v103
	v_add_f16_e32 v67, v68, v67
	v_add_f16_e32 v68, v71, v69
	;; [unrolled: 1-line block ×3, first 2 shown]
	v_fmac_f16_e32 v140, 0x3abb, v30
	v_add_f16_e32 v65, v66, v65
	v_fma_f16 v66, v35, 0xb93d, -v129
	v_add_f16_e32 v63, v60, v63
	v_fma_f16 v71, v33, 0xb08e, -v146
	v_add_f16_e32 v29, v27, v152
	v_fmac_f16_e32 v144, 0xb08e, v30
	v_add_f16_e32 v31, v60, v31
	v_fma_f16 v33, v33, 0xbbad, -v107
	v_add_f16_e32 v27, v27, v92
	v_fmac_f16_e32 v95, 0xbbad, v30
	v_mul_f16_e32 v131, 0xb08e, v36
	v_mul_f16_e32 v132, 0xb08e, v59
	v_add_f16_e32 v142, v153, v142
	v_fma_f16 v153, v36, 0xbbad, -v157
	v_fmamk_f16 v156, v35, 0x36a6, v109
	v_mul_f16_e32 v110, 0xb853, v110
	v_add_f16_e32 v115, v160, v158
	v_fma_f16 v114, v34, 0x36a6, -v98
	v_mul_f16_e32 v96, 0xb853, v96
	v_add_f16_e32 v106, v106, v108
	v_add_f16_e32 v104, v104, v126
	;; [unrolled: 1-line block ×3, first 2 shown]
	v_sub_f16_e32 v101, v125, v101
	v_add_f16_e32 v69, v140, v69
	v_fmac_f16_e32 v143, 0xb93d, v34
	v_add_f16_e32 v65, v66, v65
	v_fma_f16 v66, v59, 0x36a6, -v133
	v_add_f16_e32 v63, v71, v63
	v_fma_f16 v71, v35, 0x3abb, -v149
	v_add_f16_e32 v29, v144, v29
	v_fmac_f16_e32 v154, 0x3abb, v34
	v_add_f16_e32 v30, v33, v31
	v_fma_f16 v31, v35, 0x36a6, -v109
	v_add_f16_e32 v27, v95, v27
	v_fmac_f16_e32 v98, 0x36a6, v34
	v_mul_f16_e32 v137, 0x3abb, v61
	v_mul_f16_e32 v138, 0x3abb, v64
	v_add_f16_e32 v142, v153, v142
	v_mul_f16_e32 v153, 0x3b47, v97
	v_add_f16_e32 v155, v156, v155
	v_fmamk_f16 v156, v59, 0x3abb, v110
	v_mul_f16_e32 v111, 0xba0c, v111
	v_add_f16_e32 v114, v114, v115
	v_fma_f16 v115, v36, 0x3abb, -v96
	v_mul_f16_e32 v97, 0xba0c, v97
	v_add_f16_e32 v104, v104, v106
	v_add_f16_e32 v102, v102, v132
	;; [unrolled: 1-line block ×3, first 2 shown]
	v_sub_f16_e32 v99, v131, v99
	v_add_f16_e32 v69, v143, v69
	v_fmac_f16_e32 v147, 0x36a6, v36
	v_add_f16_e32 v65, v66, v65
	v_fma_f16 v66, v64, 0xb08e, -v128
	v_add_f16_e32 v63, v71, v63
	v_fma_f16 v71, v59, 0xbbad, -v151
	v_add_f16_e32 v29, v154, v29
	v_fmac_f16_e32 v157, 0xbbad, v36
	v_add_f16_e32 v30, v31, v30
	v_fma_f16 v31, v59, 0x3abb, -v110
	v_add_f16_e32 v27, v98, v27
	v_fmac_f16_e32 v96, 0x3abb, v36
	v_add_f16_e32 v155, v156, v155
	v_fmamk_f16 v156, v64, 0xb93d, v111
	v_add_f16_e32 v105, v115, v114
	v_fma_f16 v103, v61, 0xb93d, -v97
	v_add_f16_e32 v102, v102, v104
	v_add_f16_e32 v94, v94, v138
	;; [unrolled: 1-line block ×3, first 2 shown]
	v_sub_f16_e32 v93, v137, v93
	v_add_f16_e32 v32, v62, v32
	v_fma_f16 v159, v61, 0x36a6, -v153
	v_add_f16_e32 v69, v147, v69
	v_fmac_f16_e32 v150, 0xb08e, v61
	v_add_f16_e32 v62, v66, v65
	v_add_f16_e32 v63, v71, v63
	v_fma_f16 v66, v64, 0x36a6, -v148
	v_add_f16_e32 v29, v157, v29
	v_fmac_f16_e32 v153, 0x36a6, v61
	v_add_f16_e32 v30, v31, v30
	v_fma_f16 v31, v64, 0xb93d, -v111
	v_add_f16_e32 v27, v96, v27
	v_fmac_f16_e32 v97, 0xb93d, v61
	v_add_f16_e32 v155, v156, v155
	v_add_f16_e32 v81, v103, v105
	;; [unrolled: 1-line block ×4, first 2 shown]
	v_pack_b32_f16 v32, v68, v32
	v_pack_b32_f16 v33, v67, v70
	v_add_f16_e32 v142, v159, v142
	v_add_f16_e32 v65, v150, v69
	;; [unrolled: 1-line block ×6, first 2 shown]
	ds_write2_b32 v37, v32, v33 offset1:99
	v_pack_b32_f16 v31, v93, v94
	v_pack_b32_f16 v32, v81, v155
	v_add_nc_u32_e32 v33, 0x200, v37
	v_pack_b32_f16 v35, v142, v145
	v_pack_b32_f16 v36, v139, v123
	v_add_nc_u32_e32 v59, 0x400, v37
	;; [unrolled: 3-line block ×3, first 2 shown]
	v_pack_b32_f16 v27, v27, v30
	v_perm_b32 v30, v56, v28, 0x5040100
	v_add_nc_u32_e32 v61, 0xc00, v37
	v_perm_b32 v62, v58, v57, 0x5040100
	ds_write2_b32 v33, v31, v32 offset0:70 offset1:169
	ds_write2_b32 v59, v35, v36 offset0:140 offset1:239
	;; [unrolled: 1-line block ×4, first 2 shown]
	ds_write_b32 v37, v62 offset:3960
.LBB0_9:
	s_or_b32 exec_lo, exec_lo, s0
	v_lshlrev_b32_e32 v27, 2, v44
	s_waitcnt lgkmcnt(0)
	s_barrier
	buffer_gl0_inv
	v_add_nc_u32_e32 v68, 0xa00, v37
	v_add_co_u32 v27, s0, s8, v27
	v_add_co_ci_u32_e64 v33, null, s9, 0, s0
	v_add_nc_u32_e32 v69, 0x600, v37
	v_add_co_u32 v29, s0, 0x1000, v27
	v_add_co_ci_u32_e64 v30, s0, 0, v33, s0
	global_load_dword v34, v[29:30], off offset:260
	v_add_co_u32 v29, s0, 0x1104, v27
	v_add_co_ci_u32_e64 v30, s0, 0, v33, s0
	v_add_co_u32 v31, s0, 0x2000, v27
	v_add_co_ci_u32_e64 v32, s0, 0, v33, s0
	s_clause 0x1
	global_load_dword v59, v[29:30], off offset:484
	global_load_dword v60, v[31:32], off offset:36
	v_add_co_u32 v31, s0, 0x1800, v27
	v_add_co_ci_u32_e64 v32, s0, 0, v33, s0
	s_clause 0x5
	global_load_dword v62, v[29:30], off offset:1452
	global_load_dword v63, v[31:32], off offset:1600
	;; [unrolled: 1-line block ×6, first 2 shown]
	ds_read2_b32 v[29:30], v37 offset1:121
	ds_read_b32 v61, v37 offset:3872
	s_waitcnt lgkmcnt(1)
	v_lshrrev_b32_e32 v27, 16, v29
	s_waitcnt lgkmcnt(0)
	v_lshrrev_b32_e32 v70, 16, v61
	s_waitcnt vmcnt(8)
	v_mul_f16_sdwa v31, v27, v34 dst_sel:DWORD dst_unused:UNUSED_PAD src0_sel:DWORD src1_sel:WORD_1
	v_mul_f16_sdwa v32, v29, v34 dst_sel:DWORD dst_unused:UNUSED_PAD src0_sel:DWORD src1_sel:WORD_1
	v_fma_f16 v29, v29, v34, -v31
	v_fmac_f16_e32 v32, v27, v34
	v_add_nc_u32_e32 v27, 0x200, v37
	s_waitcnt vmcnt(7)
	v_mul_f16_sdwa v72, v30, v59 dst_sel:DWORD dst_unused:UNUSED_PAD src0_sel:DWORD src1_sel:WORD_1
	v_pack_b32_f16 v29, v29, v32
	s_waitcnt vmcnt(6)
	v_mul_f16_sdwa v73, v70, v60 dst_sel:DWORD dst_unused:UNUSED_PAD src0_sel:DWORD src1_sel:WORD_1
	v_mul_f16_sdwa v74, v61, v60 dst_sel:DWORD dst_unused:UNUSED_PAD src0_sel:DWORD src1_sel:WORD_1
	ds_write_b32 v37, v29
	ds_read2_b32 v[31:32], v27 offset0:114 offset1:235
	ds_read2_b32 v[33:34], v68 offset0:86 offset1:207
	;; [unrolled: 1-line block ×3, first 2 shown]
	v_lshrrev_b32_e32 v29, 16, v30
	v_fmac_f16_e32 v74, v70, v60
	v_mul_f16_sdwa v71, v29, v59 dst_sel:DWORD dst_unused:UNUSED_PAD src0_sel:DWORD src1_sel:WORD_1
	v_fmac_f16_e32 v72, v29, v59
	v_fma_f16 v29, v61, v60, -v73
	v_add_nc_u32_e32 v61, 0x400, v37
	v_add_nc_u32_e32 v60, 0xc00, v37
	v_fma_f16 v30, v30, v59, -v71
	v_add_nc_u32_e32 v59, 0x800, v37
	v_pack_b32_f16 v29, v29, v74
	v_pack_b32_f16 v30, v30, v72
	s_waitcnt lgkmcnt(2)
	v_lshrrev_b32_e32 v70, 16, v32
	s_waitcnt vmcnt(5)
	v_mul_f16_sdwa v71, v32, v62 dst_sel:DWORD dst_unused:UNUSED_PAD src0_sel:DWORD src1_sel:WORD_1
	s_waitcnt lgkmcnt(1)
	v_lshrrev_b32_e32 v72, 16, v33
	s_waitcnt vmcnt(3)
	v_mul_f16_sdwa v73, v33, v64 dst_sel:DWORD dst_unused:UNUSED_PAD src0_sel:DWORD src1_sel:WORD_1
	;; [unrolled: 4-line block ×3, first 2 shown]
	v_lshrrev_b32_e32 v76, 16, v34
	v_mul_f16_sdwa v77, v34, v63 dst_sel:DWORD dst_unused:UNUSED_PAD src0_sel:DWORD src1_sel:WORD_1
	v_lshrrev_b32_e32 v78, 16, v31
	s_waitcnt vmcnt(0)
	v_mul_f16_sdwa v79, v31, v67 dst_sel:DWORD dst_unused:UNUSED_PAD src0_sel:DWORD src1_sel:WORD_1
	v_lshrrev_b32_e32 v80, 16, v36
	v_mul_f16_sdwa v82, v70, v62 dst_sel:DWORD dst_unused:UNUSED_PAD src0_sel:DWORD src1_sel:WORD_1
	v_fmac_f16_e32 v71, v70, v62
	v_mul_f16_sdwa v70, v72, v64 dst_sel:DWORD dst_unused:UNUSED_PAD src0_sel:DWORD src1_sel:WORD_1
	v_fmac_f16_e32 v73, v72, v64
	;; [unrolled: 2-line block ×4, first 2 shown]
	v_mul_f16_sdwa v76, v78, v67 dst_sel:DWORD dst_unused:UNUSED_PAD src0_sel:DWORD src1_sel:WORD_1
	v_mul_f16_sdwa v81, v36, v65 dst_sel:DWORD dst_unused:UNUSED_PAD src0_sel:DWORD src1_sel:WORD_1
	v_fmac_f16_e32 v79, v78, v67
	v_mul_f16_sdwa v78, v80, v65 dst_sel:DWORD dst_unused:UNUSED_PAD src0_sel:DWORD src1_sel:WORD_1
	v_fma_f16 v32, v32, v62, -v82
	v_fma_f16 v35, v35, v66, -v72
	;; [unrolled: 1-line block ×3, first 2 shown]
	v_fmac_f16_e32 v81, v80, v65
	v_fma_f16 v33, v33, v64, -v70
	v_fma_f16 v36, v36, v65, -v78
	v_fma_f16 v34, v34, v63, -v74
	v_pack_b32_f16 v32, v32, v71
	v_pack_b32_f16 v35, v35, v75
	;; [unrolled: 1-line block ×6, first 2 shown]
	ds_write2_b32 v61, v32, v35 offset0:107 offset1:228
	ds_write2_b32 v37, v30, v31 offset0:121 offset1:242
	;; [unrolled: 1-line block ×4, first 2 shown]
	s_waitcnt lgkmcnt(0)
	s_barrier
	buffer_gl0_inv
	ds_read2_b32 v[30:31], v37 offset1:121
	ds_read2_b32 v[32:33], v27 offset0:114 offset1:235
	ds_read2_b32 v[34:35], v68 offset0:86 offset1:207
	;; [unrolled: 1-line block ×3, first 2 shown]
	ds_read_b32 v64, v37 offset:3872
	s_waitcnt lgkmcnt(0)
	s_barrier
	buffer_gl0_inv
	v_pk_add_f16 v29, v30, v33
	v_pk_add_f16 v36, v33, v34
	v_pk_add_f16 v33, v33, v34 neg_lo:[0,1] neg_hi:[0,1]
	v_pk_add_f16 v65, v31, v62
	v_pk_add_f16 v66, v62, v35
	v_pk_add_f16 v62, v62, v35 neg_lo:[0,1] neg_hi:[0,1]
	;; [unrolled: 3-line block ×3, first 2 shown]
	v_pk_add_f16 v29, v29, v34
	v_pk_fma_f16 v34, v36, 0.5, v30 op_sel_hi:[1,0,1] neg_lo:[1,0,0] neg_hi:[1,0,0]
	v_pk_mul_f16 v69, 0x3aee, v33 op_sel_hi:[0,1]
	v_pk_fma_f16 v70, v66, 0.5, v31 op_sel_hi:[1,0,1] neg_lo:[1,0,0] neg_hi:[1,0,0]
	v_pk_mul_f16 v62, 0x3aee, v62 op_sel_hi:[0,1]
	v_pk_fma_f16 v32, v68, 0.5, v32 op_sel_hi:[1,0,1] neg_lo:[1,0,0] neg_hi:[1,0,0]
	v_pk_add_f16 v36, v65, v35
	v_pk_add_f16 v31, v67, v64
	v_pk_add_f16 v30, v34, v69 op_sel:[0,1] op_sel_hi:[1,0] neg_lo:[0,1] neg_hi:[0,1]
	v_pk_add_f16 v33, v70, v62 op_sel:[0,1] op_sel_hi:[1,0] neg_lo:[0,1] neg_hi:[0,1]
	v_pk_fma_f16 v64, 0x3aee, v63, v32 op_sel:[0,0,1] op_sel_hi:[0,1,0] neg_lo:[0,1,0] neg_hi:[0,1,0]
	v_pk_add_f16 v35, v34, v69 op_sel:[0,1] op_sel_hi:[1,0]
	v_pk_add_f16 v34, v70, v62 op_sel:[0,1] op_sel_hi:[1,0]
	v_pk_fma_f16 v66, 0x3aee, v63, v32 op_sel:[0,0,1] op_sel_hi:[0,1,0]
	v_lshrrev_b32_e32 v65, 16, v30
	v_lshrrev_b32_e32 v32, 16, v64
	v_bfi_b32 v68, 0xffff, v35, v30
	v_bfi_b32 v69, 0xffff, v30, v35
	v_lshrrev_b32_e32 v63, 16, v33
	v_lshrrev_b32_e32 v62, 16, v34
	;; [unrolled: 1-line block ×3, first 2 shown]
	v_bfi_b32 v70, 0xffff, v34, v33
	v_bfi_b32 v71, 0xffff, v33, v34
	v_alignbit_b32 v72, v64, v66, 16
	v_alignbit_b32 v73, v66, v64, 16
	ds_write_b32 v52, v29
	ds_write2_b32 v52, v69, v68 offset0:1 offset1:2
	ds_write_b32 v51, v36
	ds_write2_b32 v51, v71, v70 offset0:1 offset1:2
	;; [unrolled: 2-line block ×3, first 2 shown]
	s_waitcnt lgkmcnt(0)
	s_barrier
	buffer_gl0_inv
	s_and_saveexec_b32 s0, vcc_lo
	s_cbranch_execz .LBB0_11
; %bb.10:
	ds_read2_b32 v[29:30], v37 offset1:99
	ds_read2_b32 v[35:36], v27 offset0:70 offset1:169
	ds_read2_b32 v[33:34], v61 offset0:140 offset1:239
	;; [unrolled: 1-line block ×3, first 2 shown]
	ds_read_b32 v57, v37 offset:3960
	ds_read2_b32 v[31:32], v59 offset0:82 offset1:181
	s_waitcnt lgkmcnt(5)
	v_lshrrev_b32_e32 v67, 16, v30
	s_waitcnt lgkmcnt(4)
	v_lshrrev_b32_e32 v65, 16, v35
	s_waitcnt lgkmcnt(3)
	v_lshrrev_b32_e32 v62, 16, v33
	v_lshrrev_b32_e32 v63, 16, v34
	s_waitcnt lgkmcnt(2)
	v_lshrrev_b32_e32 v64, 16, v27
	v_lshrrev_b32_e32 v56, 16, v28
	s_waitcnt lgkmcnt(1)
	v_lshrrev_b32_e32 v58, 16, v57
	s_waitcnt lgkmcnt(0)
	v_alignbit_b32 v66, v27, v32, 16
.LBB0_11:
	s_or_b32 exec_lo, exec_lo, s0
	v_mul_f16_sdwa v51, v4, v67 dst_sel:DWORD dst_unused:UNUSED_PAD src0_sel:WORD_1 src1_sel:DWORD
	v_mul_f16_sdwa v27, v4, v30 dst_sel:DWORD dst_unused:UNUSED_PAD src0_sel:WORD_1 src1_sel:DWORD
	v_lshrrev_b32_e32 v61, 16, v36
	v_mul_f16_sdwa v60, v5, v65 dst_sel:DWORD dst_unused:UNUSED_PAD src0_sel:WORD_1 src1_sel:DWORD
	v_mul_f16_sdwa v59, v5, v35 dst_sel:DWORD dst_unused:UNUSED_PAD src0_sel:WORD_1 src1_sel:DWORD
	v_fmac_f16_e32 v51, v4, v30
	v_fma_f16 v52, v4, v67, -v27
	v_mul_f16_sdwa v50, v6, v61 dst_sel:DWORD dst_unused:UNUSED_PAD src0_sel:WORD_1 src1_sel:DWORD
	v_mul_f16_sdwa v4, v6, v36 dst_sel:DWORD dst_unused:UNUSED_PAD src0_sel:WORD_1 src1_sel:DWORD
	v_fmac_f16_e32 v60, v5, v35
	v_fma_f16 v59, v5, v65, -v59
	v_mul_f16_sdwa v35, v7, v62 dst_sel:DWORD dst_unused:UNUSED_PAD src0_sel:WORD_1 src1_sel:DWORD
	v_fmac_f16_e32 v50, v6, v36
	v_fma_f16 v36, v6, v61, -v4
	v_lshrrev_b32_e32 v4, 16, v31
	v_mul_f16_sdwa v5, v7, v33 dst_sel:DWORD dst_unused:UNUSED_PAD src0_sel:WORD_1 src1_sel:DWORD
	v_mul_f16_sdwa v61, v0, v63 dst_sel:DWORD dst_unused:UNUSED_PAD src0_sel:WORD_1 src1_sel:DWORD
	v_mul_f16_sdwa v6, v0, v34 dst_sel:DWORD dst_unused:UNUSED_PAD src0_sel:WORD_1 src1_sel:DWORD
	v_fmac_f16_e32 v35, v7, v33
	v_mul_f16_sdwa v33, v1, v4 dst_sel:DWORD dst_unused:UNUSED_PAD src0_sel:WORD_1 src1_sel:DWORD
	v_fma_f16 v62, v7, v62, -v5
	v_mul_f16_sdwa v5, v1, v31 dst_sel:DWORD dst_unused:UNUSED_PAD src0_sel:WORD_1 src1_sel:DWORD
	v_fmac_f16_e32 v61, v0, v34
	v_fma_f16 v34, v0, v63, -v6
	v_mul_f16_sdwa v0, v18, v57 dst_sel:DWORD dst_unused:UNUSED_PAD src0_sel:WORD_1 src1_sel:DWORD
	v_fmac_f16_e32 v33, v1, v31
	v_fma_f16 v63, v1, v4, -v5
	v_mul_f16_sdwa v1, v2, v32 dst_sel:DWORD dst_unused:UNUSED_PAD src0_sel:WORD_1 src1_sel:DWORD
	v_mul_f16_sdwa v7, v18, v58 dst_sel:DWORD dst_unused:UNUSED_PAD src0_sel:WORD_1 src1_sel:DWORD
	v_fma_f16 v4, v18, v58, -v0
	v_mul_f16_sdwa v65, v2, v66 dst_sel:DWORD dst_unused:UNUSED_PAD src0_sel:WORD_1 src1_sel:DWORD
	v_lshrrev_b32_e32 v5, 16, v66
	v_mul_f16_sdwa v58, v3, v64 dst_sel:DWORD dst_unused:UNUSED_PAD src0_sel:WORD_1 src1_sel:DWORD
	v_fmac_f16_e32 v7, v18, v57
	v_sub_f16_e32 v77, v52, v4
	v_fma_f16 v66, v2, v66, -v1
	v_mul_f16_sdwa v1, v17, v28 dst_sel:DWORD dst_unused:UNUSED_PAD src0_sel:WORD_1 src1_sel:DWORD
	v_fmac_f16_e32 v65, v2, v32
	v_fmac_f16_e32 v58, v3, v5
	v_add_f16_e32 v0, v7, v51
	v_mul_f16_e32 v68, 0xb853, v77
	v_mul_f16_sdwa v5, v3, v5 dst_sel:DWORD dst_unused:UNUSED_PAD src0_sel:WORD_1 src1_sel:DWORD
	v_add_f16_e32 v85, v4, v52
	v_mul_f16_sdwa v57, v17, v56 dst_sel:DWORD dst_unused:UNUSED_PAD src0_sel:WORD_1 src1_sel:DWORD
	v_fma_f16 v32, v17, v56, -v1
	v_fma_f16 v1, v0, 0x3abb, -v68
	v_sub_f16_e32 v2, v51, v7
	v_mul_f16_e32 v71, 0x3abb, v85
	v_fma_f16 v56, v3, v64, -v5
	v_fmac_f16_e32 v57, v17, v28
	v_sub_f16_e32 v82, v59, v32
	v_add_f16_e32 v90, v32, v59
	v_add_f16_e32 v5, v29, v1
	v_fmamk_f16 v6, v2, 0xb853, v71
	v_mul_f16_e32 v76, 0xbb47, v77
	v_mul_f16_e32 v80, 0x36a6, v85
	v_add_f16_e32 v1, v57, v60
	v_mul_f16_e32 v69, 0xbb47, v82
	v_sub_f16_e32 v3, v60, v57
	v_mul_f16_e32 v70, 0x36a6, v90
	v_add_f16_e32 v95, v56, v36
	v_fma_f16 v17, v0, 0x36a6, -v76
	v_fmamk_f16 v18, v2, 0xbb47, v80
	v_fma_f16 v27, v1, 0x36a6, -v69
	v_add_f16_sdwa v28, v29, v6 dst_sel:DWORD dst_unused:UNUSED_PAD src0_sel:WORD_1 src1_sel:DWORD
	v_fmamk_f16 v30, v3, 0xbb47, v70
	v_sub_f16_e32 v87, v36, v56
	v_mul_f16_e32 v81, 0xba0c, v82
	v_mul_f16_e32 v83, 0xb93d, v90
	v_sub_f16_e32 v6, v50, v58
	v_mul_f16_e32 v73, 0xb08e, v95
	v_add_f16_e32 v17, v29, v17
	v_add_f16_sdwa v18, v29, v18 dst_sel:DWORD dst_unused:UNUSED_PAD src0_sel:WORD_1 src1_sel:DWORD
	v_add_f16_e32 v27, v27, v5
	v_add_f16_e32 v5, v58, v50
	v_mul_f16_e32 v72, 0xbbeb, v87
	v_fma_f16 v31, v1, 0xb93d, -v81
	v_fmamk_f16 v64, v3, 0xba0c, v83
	v_add_f16_e32 v28, v30, v28
	v_fmamk_f16 v30, v6, 0xbbeb, v73
	v_mul_f16_e32 v84, 0x3482, v87
	v_sub_f16_e32 v88, v62, v66
	v_add_f16_e32 v96, v66, v62
	v_fma_f16 v67, v5, 0xb08e, -v72
	v_add_f16_e32 v31, v31, v17
	v_add_f16_e32 v64, v64, v18
	;; [unrolled: 1-line block ×3, first 2 shown]
	v_mul_f16_e32 v86, 0xbbad, v95
	v_fma_f16 v30, v5, 0xbbad, -v84
	v_add_f16_e32 v17, v65, v35
	v_mul_f16_e32 v74, 0xba0c, v88
	v_sub_f16_e32 v18, v35, v65
	v_mul_f16_e32 v75, 0xb93d, v96
	v_mul_f16_e32 v89, 0x3beb, v88
	v_add_f16_e32 v27, v67, v27
	v_fmamk_f16 v67, v6, 0x3482, v86
	v_fma_f16 v78, v17, 0xb93d, -v74
	v_add_f16_e32 v30, v30, v31
	v_fmamk_f16 v31, v18, 0xba0c, v75
	v_fma_f16 v79, v17, 0xb08e, -v89
	v_mul_f16_e32 v91, 0xb08e, v96
	v_sub_f16_e32 v92, v34, v63
	v_add_f16_e32 v97, v63, v34
	v_add_f16_e32 v98, v67, v64
	;; [unrolled: 1-line block ×5, first 2 shown]
	v_fmamk_f16 v31, v18, 0x3beb, v91
	v_add_f16_e32 v64, v33, v61
	v_sub_f16_e32 v67, v61, v33
	v_mul_f16_e32 v78, 0xb482, v92
	v_mul_f16_e32 v79, 0xbbad, v97
	;; [unrolled: 1-line block ×4, first 2 shown]
	v_add_f16_e32 v98, v31, v98
	v_fma_f16 v31, v64, 0xbbad, -v78
	v_fmamk_f16 v99, v67, 0xb482, v79
	v_fma_f16 v100, v64, 0x3abb, -v93
	v_fmamk_f16 v101, v67, 0x3853, v94
	v_add_f16_e32 v27, v31, v27
	v_add_f16_e32 v31, v99, v28
	;; [unrolled: 1-line block ×4, first 2 shown]
	s_barrier
	buffer_gl0_inv
	s_and_saveexec_b32 s0, vcc_lo
	s_cbranch_execz .LBB0_13
; %bb.12:
	v_mul_f16_e32 v105, 0xbbad, v85
	v_mul_f16_e32 v111, 0x3abb, v90
	;; [unrolled: 1-line block ×3, first 2 shown]
	v_add_f16_e32 v51, v29, v51
	v_mul_f16_e32 v120, 0x36a6, v96
	v_fmamk_f16 v110, v2, 0x3482, v105
	v_fmamk_f16 v115, v3, 0xb853, v111
	v_mul_f16_e32 v98, 0x3abb, v0
	v_mul_f16_e32 v99, 0xb853, v2
	v_add_f16_e32 v51, v60, v51
	v_add_f16_sdwa v110, v29, v110 dst_sel:DWORD dst_unused:UNUSED_PAD src0_sel:WORD_1 src1_sel:DWORD
	v_add_f16_sdwa v52, v52, v29 dst_sel:DWORD dst_unused:UNUSED_PAD src0_sel:DWORD src1_sel:WORD_1
	v_mul_f16_e32 v123, 0xb482, v77
	v_mul_f16_e32 v124, 0xb08e, v97
	;; [unrolled: 1-line block ×3, first 2 shown]
	v_add_f16_e32 v110, v115, v110
	v_fmamk_f16 v115, v6, 0x3a0c, v116
	v_mul_f16_e32 v103, 0xbb47, v3
	v_sub_f16_e32 v71, v71, v99
	v_add_f16_e32 v68, v98, v68
	v_add_f16_e32 v50, v50, v51
	;; [unrolled: 1-line block ×3, first 2 shown]
	v_fmamk_f16 v115, v18, 0xbb47, v120
	v_add_f16_e32 v51, v59, v52
	v_fmamk_f16 v126, v0, 0xbbad, v123
	v_mul_f16_e32 v127, 0x3853, v82
	v_mul_f16_e32 v128, 0xb93d, v85
	v_add_f16_e32 v110, v115, v110
	v_fmamk_f16 v115, v67, 0x3beb, v124
	v_mul_f16_e32 v107, 0xb08e, v5
	v_mul_f16_e32 v108, 0xbbeb, v6
	v_add_f16_sdwa v71, v29, v71 dst_sel:DWORD dst_unused:UNUSED_PAD src0_sel:WORD_1 src1_sel:DWORD
	v_sub_f16_e32 v60, v70, v103
	v_add_f16_e32 v68, v29, v68
	v_add_f16_e32 v69, v102, v69
	;; [unrolled: 1-line block ×5, first 2 shown]
	v_fmamk_f16 v129, v1, 0x3abb, v127
	v_mul_f16_e32 v130, 0xba0c, v87
	v_add_f16_e32 v110, v115, v110
	v_fmamk_f16 v115, v2, 0x3a0c, v128
	v_mul_f16_e32 v131, 0xb08e, v90
	v_mul_f16_e32 v113, 0xb93d, v17
	v_add_f16_e32 v52, v60, v71
	v_sub_f16_e32 v59, v73, v108
	v_add_f16_e32 v60, v69, v68
	v_add_f16_e32 v50, v107, v72
	;; [unrolled: 1-line block ×5, first 2 shown]
	v_fmamk_f16 v129, v5, 0xb93d, v130
	v_mul_f16_e32 v132, 0x3b47, v88
	v_add_f16_sdwa v115, v29, v115 dst_sel:DWORD dst_unused:UNUSED_PAD src0_sel:WORD_1 src1_sel:DWORD
	v_fmamk_f16 v133, v3, 0xbbeb, v131
	v_mul_f16_e32 v134, 0x3abb, v95
	v_mul_f16_e32 v119, 0xbbad, v64
	v_add_f16_e32 v51, v59, v52
	v_add_f16_e32 v50, v50, v60
	v_add_f16_e32 v59, v113, v74
	v_add_f16_e32 v33, v33, v35
	v_add_f16_e32 v34, v34, v36
	v_add_f16_e32 v126, v129, v126
	v_fmamk_f16 v129, v17, 0x36a6, v132
	v_mul_f16_e32 v135, 0xbbeb, v92
	v_add_f16_e32 v115, v133, v115
	v_fmamk_f16 v133, v6, 0x3853, v134
	v_mul_f16_e32 v136, 0xbbad, v96
	v_mul_f16_e32 v114, 0xba0c, v18
	v_add_f16_e32 v36, v59, v50
	v_add_f16_e32 v50, v119, v78
	;; [unrolled: 1-line block ×5, first 2 shown]
	v_fmamk_f16 v129, v64, 0xb08e, v135
	v_mul_f16_e32 v137, 0xba0c, v77
	v_add_f16_e32 v115, v133, v115
	v_fmamk_f16 v133, v18, 0x3482, v136
	v_mul_f16_e32 v138, 0x36a6, v97
	v_sub_f16_e32 v52, v75, v114
	v_add_f16_e32 v36, v50, v36
	v_add_f16_e32 v33, v58, v33
	;; [unrolled: 1-line block ×3, first 2 shown]
	v_fma_f16 v50, v0, 0xbbad, -v123
	v_add_f16_e32 v126, v129, v126
	v_fmamk_f16 v129, v0, 0xb93d, v137
	v_mul_f16_e32 v139, 0x3beb, v82
	v_add_f16_e32 v115, v133, v115
	v_fmamk_f16 v133, v67, 0xbb47, v138
	v_mul_f16_e32 v85, 0xb08e, v85
	v_mul_f16_e32 v121, 0xb482, v67
	v_add_f16_e32 v51, v52, v51
	v_add_f16_e32 v33, v57, v33
	;; [unrolled: 1-line block ×4, first 2 shown]
	v_fma_f16 v52, v1, 0x3abb, -v127
	v_add_f16_e32 v129, v29, v129
	v_fmamk_f16 v140, v1, 0xb08e, v139
	v_mul_f16_e32 v141, 0xb853, v87
	v_add_f16_e32 v115, v133, v115
	v_fmamk_f16 v133, v2, 0x3beb, v85
	v_mul_f16_e32 v90, 0xbbad, v90
	v_sub_f16_e32 v35, v79, v121
	v_fmac_f16_e32 v105, 0xb482, v2
	v_add_f16_e32 v7, v7, v33
	v_add_f16_e32 v32, v32, v34
	;; [unrolled: 1-line block ×3, first 2 shown]
	v_fma_f16 v34, v5, 0xb93d, -v130
	v_add_f16_e32 v129, v140, v129
	v_fmamk_f16 v140, v5, 0x3abb, v141
	v_mul_f16_e32 v142, 0xb482, v88
	v_add_f16_sdwa v133, v29, v133 dst_sel:DWORD dst_unused:UNUSED_PAD src0_sel:WORD_1 src1_sel:DWORD
	v_fmamk_f16 v143, v3, 0xb482, v90
	v_mul_f16_e32 v95, 0x36a6, v95
	v_add_f16_e32 v35, v35, v51
	v_add_f16_sdwa v51, v29, v105 dst_sel:DWORD dst_unused:UNUSED_PAD src0_sel:WORD_1 src1_sel:DWORD
	v_fmac_f16_e32 v111, 0x3853, v3
	v_add_f16_e32 v4, v4, v32
	v_add_f16_e32 v32, v34, v33
	v_fma_f16 v33, v17, 0x36a6, -v132
	v_mul_f16_e32 v100, 0x36a6, v0
	v_mul_f16_e32 v101, 0xbb47, v2
	v_add_f16_e32 v129, v140, v129
	v_fmamk_f16 v140, v17, 0xbbad, v142
	v_mul_f16_e32 v144, 0x3b47, v92
	v_add_f16_e32 v133, v143, v133
	v_fmamk_f16 v143, v6, 0xbb47, v95
	v_mul_f16_e32 v96, 0x3abb, v96
	v_mul_f16_e32 v77, 0xbbeb, v77
	v_add_f16_e32 v51, v111, v51
	v_fmac_f16_e32 v116, 0xba0c, v6
	v_add_f16_e32 v32, v33, v32
	v_fma_f16 v33, v0, 0xb93d, -v137
	v_mul_f16_e32 v104, 0xb93d, v1
	v_mul_f16_e32 v106, 0xba0c, v3
	v_add_f16_e32 v129, v140, v129
	v_fmamk_f16 v140, v64, 0x36a6, v144
	v_add_f16_e32 v133, v143, v133
	v_fmamk_f16 v143, v18, 0x3853, v96
	v_mul_f16_e32 v97, 0xb93d, v97
	v_fmamk_f16 v145, v0, 0xb08e, v77
	v_mul_f16_e32 v82, 0x3482, v82
	v_sub_f16_e32 v80, v80, v101
	v_add_f16_e32 v76, v100, v76
	v_add_f16_e32 v50, v116, v51
	v_fmac_f16_e32 v120, 0x3b47, v18
	v_fmac_f16_e32 v128, 0xba0c, v2
	v_fma_f16 v51, v64, 0xb08e, -v135
	v_add_f16_e32 v33, v29, v33
	v_fma_f16 v52, v1, 0xb08e, -v139
	v_fmac_f16_e32 v85, 0xbbeb, v2
	v_fma_f16 v0, v0, 0xb08e, -v77
	v_mul_f16_e32 v109, 0xbbad, v5
	v_mul_f16_e32 v112, 0x3482, v6
	v_add_f16_e32 v129, v140, v129
	v_add_f16_e32 v133, v143, v133
	v_fmamk_f16 v140, v67, 0x3a0c, v97
	v_add_f16_e32 v143, v29, v145
	v_fmamk_f16 v145, v1, 0xbbad, v82
	v_mul_f16_e32 v87, 0x3b47, v87
	v_add_f16_sdwa v80, v29, v80 dst_sel:DWORD dst_unused:UNUSED_PAD src0_sel:WORD_1 src1_sel:DWORD
	v_sub_f16_e32 v83, v83, v106
	v_add_f16_e32 v76, v29, v76
	v_add_f16_e32 v81, v104, v81
	v_add_f16_e32 v34, v120, v50
	v_add_f16_sdwa v50, v29, v128 dst_sel:DWORD dst_unused:UNUSED_PAD src0_sel:WORD_1 src1_sel:DWORD
	v_fmac_f16_e32 v131, 0x3beb, v3
	v_add_f16_e32 v32, v51, v32
	v_add_f16_e32 v2, v52, v33
	v_fma_f16 v33, v5, 0x3abb, -v141
	v_add_f16_sdwa v51, v29, v85 dst_sel:DWORD dst_unused:UNUSED_PAD src0_sel:WORD_1 src1_sel:DWORD
	v_fmac_f16_e32 v90, 0x3482, v3
	v_add_f16_e32 v0, v29, v0
	v_fma_f16 v1, v1, 0xbbad, -v82
	v_mul_f16_e32 v117, 0xb08e, v17
	v_mul_f16_e32 v118, 0x3beb, v18
	v_add_f16_e32 v101, v140, v133
	v_add_f16_e32 v100, v145, v143
	v_fmamk_f16 v133, v5, 0x36a6, v87
	v_mul_f16_e32 v88, 0xb853, v88
	v_add_f16_e32 v80, v83, v80
	v_sub_f16_e32 v83, v86, v112
	v_add_f16_e32 v76, v81, v76
	v_add_f16_e32 v81, v109, v84
	;; [unrolled: 1-line block ×3, first 2 shown]
	v_fmac_f16_e32 v134, 0xb853, v6
	v_add_f16_e32 v2, v33, v2
	v_fma_f16 v3, v17, 0xbbad, -v142
	v_add_f16_e32 v29, v90, v51
	v_fmac_f16_e32 v95, 0x3b47, v6
	v_add_f16_e32 v0, v1, v0
	v_fma_f16 v1, v5, 0x36a6, -v87
	v_mul_f16_e32 v122, 0x3abb, v64
	v_mul_f16_e32 v125, 0x3853, v67
	v_add_f16_e32 v100, v133, v100
	v_fmamk_f16 v84, v17, 0x3abb, v88
	v_mul_f16_e32 v86, 0xba0c, v92
	v_add_f16_e32 v80, v83, v80
	v_sub_f16_e32 v83, v91, v118
	v_add_f16_e32 v76, v81, v76
	v_add_f16_e32 v81, v117, v89
	v_mov_b32_e32 v5, 33
	v_add_f16_e32 v50, v134, v50
	v_fmac_f16_e32 v136, 0xb482, v18
	v_add_f16_e32 v2, v3, v2
	v_add_f16_e32 v3, v95, v29
	v_fmac_f16_e32 v96, 0xb853, v18
	v_add_f16_e32 v0, v1, v0
	v_fma_f16 v1, v17, 0x3abb, -v88
	v_add_f16_e32 v84, v84, v100
	v_fmamk_f16 v89, v64, 0xb93d, v86
	v_add_f16_e32 v80, v83, v80
	v_sub_f16_e32 v83, v94, v125
	v_add_f16_e32 v76, v81, v76
	v_add_f16_e32 v81, v122, v93
	v_mul_u32_u24_sdwa v5, v49, v5 dst_sel:DWORD dst_unused:UNUSED_PAD src0_sel:WORD_0 src1_sel:DWORD
	v_fmac_f16_e32 v124, 0xbbeb, v67
	v_add_f16_e32 v50, v136, v50
	v_fmac_f16_e32 v138, 0x3b47, v67
	v_fma_f16 v6, v64, 0x36a6, -v144
	v_add_f16_e32 v3, v96, v3
	v_fmac_f16_e32 v97, 0xba0c, v67
	v_add_f16_e32 v0, v1, v0
	v_fma_f16 v1, v64, 0xb93d, -v86
	v_add_f16_e32 v84, v89, v84
	v_add_f16_e32 v80, v83, v80
	;; [unrolled: 1-line block ×3, first 2 shown]
	v_add_lshl_u32 v5, v5, v48, 2
	v_pack_b32_f16 v4, v7, v4
	v_pack_b32_f16 v7, v36, v35
	v_add_f16_e32 v34, v124, v34
	v_add_f16_e32 v17, v138, v50
	;; [unrolled: 1-line block ×5, first 2 shown]
	ds_write2_b32 v5, v4, v7 offset1:3
	v_pack_b32_f16 v1, v76, v80
	v_pack_b32_f16 v4, v84, v101
	;; [unrolled: 1-line block ×7, first 2 shown]
	v_perm_b32 v3, v28, v30, 0x5040100
	v_perm_b32 v17, v31, v27, 0x5040100
	ds_write2_b32 v5, v1, v4 offset0:6 offset1:9
	ds_write2_b32 v5, v6, v7 offset0:12 offset1:15
	;; [unrolled: 1-line block ×4, first 2 shown]
	ds_write_b32 v5, v17 offset:120
.LBB0_13:
	s_or_b32 exec_lo, exec_lo, s0
	v_add_nc_u32_e32 v34, 0x200, v37
	v_add_nc_u32_e32 v0, 0xa00, v37
	;; [unrolled: 1-line block ×3, first 2 shown]
	s_waitcnt lgkmcnt(0)
	s_barrier
	buffer_gl0_inv
	ds_read2_b32 v[2:3], v37 offset1:121
	ds_read_b32 v17, v37 offset:3872
	ds_read2_b32 v[4:5], v34 offset0:114 offset1:235
	ds_read2_b32 v[0:1], v0 offset0:86 offset1:207
	;; [unrolled: 1-line block ×3, first 2 shown]
	s_waitcnt lgkmcnt(0)
	s_barrier
	buffer_gl0_inv
	v_lshrrev_b32_e32 v18, 16, v17
	v_lshrrev_b32_e32 v35, 16, v5
	;; [unrolled: 1-line block ×5, first 2 shown]
	v_mul_f16_sdwa v51, v23, v5 dst_sel:DWORD dst_unused:UNUSED_PAD src0_sel:WORD_1 src1_sel:DWORD
	v_mul_f16_sdwa v52, v24, v0 dst_sel:DWORD dst_unused:UNUSED_PAD src0_sel:WORD_1 src1_sel:DWORD
	;; [unrolled: 1-line block ×3, first 2 shown]
	v_lshrrev_b32_e32 v50, 16, v7
	v_mul_f16_sdwa v58, v23, v35 dst_sel:DWORD dst_unused:UNUSED_PAD src0_sel:WORD_1 src1_sel:DWORD
	v_fma_f16 v35, v23, v35, -v51
	v_mul_f16_sdwa v51, v24, v36 dst_sel:DWORD dst_unused:UNUSED_PAD src0_sel:WORD_1 src1_sel:DWORD
	v_fma_f16 v36, v24, v36, -v52
	;; [unrolled: 2-line block ×3, first 2 shown]
	v_mul_f16_sdwa v56, v22, v49 dst_sel:DWORD dst_unused:UNUSED_PAD src0_sel:WORD_1 src1_sel:DWORD
	v_mul_f16_sdwa v57, v22, v1 dst_sel:DWORD dst_unused:UNUSED_PAD src0_sel:WORD_1 src1_sel:DWORD
	;; [unrolled: 1-line block ×3, first 2 shown]
	v_fmac_f16_e32 v58, v23, v5
	v_fmac_f16_e32 v51, v24, v0
	;; [unrolled: 1-line block ×3, first 2 shown]
	v_mul_f16_sdwa v0, v19, v7 dst_sel:DWORD dst_unused:UNUSED_PAD src0_sel:WORD_1 src1_sel:DWORD
	v_mul_f16_sdwa v24, v20, v18 dst_sel:DWORD dst_unused:UNUSED_PAD src0_sel:WORD_1 src1_sel:DWORD
	;; [unrolled: 1-line block ×3, first 2 shown]
	v_lshrrev_b32_e32 v33, 16, v2
	v_fma_f16 v5, v22, v49, -v57
	v_fmac_f16_e32 v59, v19, v7
	v_fma_f16 v49, v19, v50, -v0
	v_add_f16_e32 v0, v58, v51
	v_fmac_f16_e32 v24, v20, v17
	v_add_f16_e32 v7, v2, v58
	v_fma_f16 v20, v20, v18, -v1
	v_add_f16_e32 v1, v35, v36
	v_fmac_f16_e32 v52, v21, v6
	v_fma_f16 v6, -0.5, v0, v2
	v_add_f16_e32 v0, v7, v51
	v_add_f16_e32 v7, v33, v35
	v_fmac_f16_e32 v33, -0.5, v1
	v_sub_f16_e32 v17, v58, v51
	v_lshrrev_b32_e32 v29, 16, v3
	v_sub_f16_e32 v2, v35, v36
	v_lshrrev_b32_e32 v32, 16, v4
	v_add_f16_e32 v19, v7, v36
	v_fmamk_f16 v23, v17, 0x3aee, v33
	v_fmac_f16_e32 v33, 0xbaee, v17
	v_add_f16_e32 v17, v48, v5
	v_fmamk_f16 v1, v2, 0xbaee, v6
	v_fmac_f16_e32 v6, 0x3aee, v2
	v_add_f16_e32 v2, v52, v56
	v_add_f16_e32 v21, v29, v48
	v_fmac_f16_e32 v29, -0.5, v17
	v_sub_f16_e32 v17, v52, v56
	v_add_f16_e32 v7, v3, v52
	v_fmac_f16_e32 v3, -0.5, v2
	v_sub_f16_e32 v18, v48, v5
	v_add_f16_e32 v22, v21, v5
	v_add_f16_e32 v5, v59, v24
	v_fmamk_f16 v21, v17, 0x3aee, v29
	v_fmac_f16_e32 v29, 0xbaee, v17
	v_add_f16_e32 v17, v49, v20
	v_fmamk_f16 v2, v18, 0xbaee, v3
	v_fmac_f16_e32 v3, 0x3aee, v18
	v_add_f16_e32 v18, v4, v59
	v_fmac_f16_e32 v4, -0.5, v5
	v_sub_f16_e32 v5, v49, v20
	v_add_f16_e32 v35, v32, v49
	v_fmac_f16_e32 v32, -0.5, v17
	v_sub_f16_e32 v36, v59, v24
	v_add_f16_e32 v17, v18, v24
	v_fmamk_f16 v18, v5, 0xbaee, v4
	v_fmac_f16_e32 v4, 0x3aee, v5
	v_add_f16_e32 v20, v35, v20
	v_pack_b32_f16 v5, v0, v19
	v_pack_b32_f16 v35, v1, v23
	v_add_f16_e32 v7, v7, v56
	v_fmamk_f16 v24, v36, 0x3aee, v32
	v_fmac_f16_e32 v32, 0xbaee, v36
	v_pack_b32_f16 v36, v2, v21
	ds_write2_b32 v55, v5, v35 offset1:33
	v_pack_b32_f16 v5, v6, v33
	v_pack_b32_f16 v35, v7, v22
	;; [unrolled: 1-line block ×6, first 2 shown]
	ds_write_b32 v55, v5 offset:264
	ds_write2_b32 v54, v35, v36 offset1:33
	ds_write_b32 v54, v48 offset:264
	ds_write2_b32 v53, v49, v50 offset1:33
	ds_write_b32 v53, v51 offset:264
	s_waitcnt lgkmcnt(0)
	s_barrier
	buffer_gl0_inv
	s_and_saveexec_b32 s0, vcc_lo
	s_cbranch_execz .LBB0_15
; %bb.14:
	v_add_nc_u32_e32 v2, 0x400, v37
	v_add_nc_u32_e32 v4, 0x800, v37
	;; [unrolled: 1-line block ×3, first 2 shown]
	ds_read2_b32 v[0:1], v37 offset1:99
	ds_read2_b32 v[6:7], v34 offset0:70 offset1:169
	ds_read_b32 v27, v37 offset:3960
	ds_read2_b32 v[2:3], v2 offset0:140 offset1:239
	ds_read2_b32 v[17:18], v4 offset0:82 offset1:181
	;; [unrolled: 1-line block ×3, first 2 shown]
	s_waitcnt lgkmcnt(3)
	v_lshrrev_b32_e32 v31, 16, v27
	v_lshrrev_b32_e32 v19, 16, v0
	;; [unrolled: 1-line block ×5, first 2 shown]
	s_waitcnt lgkmcnt(2)
	v_lshrrev_b32_e32 v21, 16, v2
	v_lshrrev_b32_e32 v29, 16, v3
	s_waitcnt lgkmcnt(1)
	v_lshrrev_b32_e32 v20, 16, v17
	v_lshrrev_b32_e32 v24, 16, v18
	;; [unrolled: 3-line block ×3, first 2 shown]
	v_mov_b32_e32 v30, v5
.LBB0_15:
	s_or_b32 exec_lo, exec_lo, s0
	s_and_saveexec_b32 s0, vcc_lo
	s_cbranch_execz .LBB0_17
; %bb.16:
	v_mul_f16_sdwa v5, v26, v27 dst_sel:DWORD dst_unused:UNUSED_PAD src0_sel:WORD_1 src1_sel:DWORD
	v_mul_f16_sdwa v34, v12, v1 dst_sel:DWORD dst_unused:UNUSED_PAD src0_sel:WORD_1 src1_sel:DWORD
	;; [unrolled: 1-line block ×5, first 2 shown]
	v_fma_f16 v5, v26, v31, -v5
	v_fma_f16 v34, v12, v23, -v34
	v_mul_f16_sdwa v23, v12, v23 dst_sel:DWORD dst_unused:UNUSED_PAD src0_sel:WORD_1 src1_sel:DWORD
	v_mul_f16_sdwa v31, v26, v31 dst_sel:DWORD dst_unused:UNUSED_PAD src0_sel:WORD_1 src1_sel:DWORD
	v_fma_f16 v35, v25, v28, -v35
	v_fma_f16 v36, v13, v33, -v36
	v_add_f16_e32 v48, v5, v34
	v_mul_f16_sdwa v33, v13, v33 dst_sel:DWORD dst_unused:UNUSED_PAD src0_sel:WORD_1 src1_sel:DWORD
	v_mul_f16_sdwa v28, v25, v28 dst_sel:DWORD dst_unused:UNUSED_PAD src0_sel:WORD_1 src1_sel:DWORD
	v_fmac_f16_e32 v23, v12, v1
	v_fmac_f16_e32 v31, v26, v27
	v_add_f16_e32 v12, v35, v36
	v_fmac_f16_e32 v33, v13, v6
	v_fmac_f16_e32 v28, v25, v30
	v_mul_f16_e32 v6, 0xbbad, v48
	v_sub_f16_e32 v13, v23, v31
	v_mul_f16_e32 v25, 0x3abb, v12
	v_mul_f16_sdwa v30, v11, v4 dst_sel:DWORD dst_unused:UNUSED_PAD src0_sel:WORD_1 src1_sel:DWORD
	v_sub_f16_e32 v1, v33, v28
	v_mul_f16_sdwa v50, v14, v22 dst_sel:DWORD dst_unused:UNUSED_PAD src0_sel:WORD_1 src1_sel:DWORD
	v_fmamk_f16 v26, v13, 0x3482, v6
	v_fma_f16 v22, v14, v22, -v49
	v_fma_f16 v30, v11, v32, -v30
	v_fmamk_f16 v27, v1, 0xb853, v25
	v_mul_f16_sdwa v49, v15, v2 dst_sel:DWORD dst_unused:UNUSED_PAD src0_sel:WORD_1 src1_sel:DWORD
	v_add_f16_e32 v26, v19, v26
	v_fmac_f16_e32 v50, v14, v7
	v_sub_f16_e32 v52, v34, v5
	v_add_f16_e32 v53, v31, v23
	v_fma_f16 v7, v15, v21, -v49
	v_add_f16_e32 v26, v27, v26
	v_mul_f16_sdwa v27, v11, v32 dst_sel:DWORD dst_unused:UNUSED_PAD src0_sel:WORD_1 src1_sel:DWORD
	v_mul_f16_sdwa v32, v10, v18 dst_sel:DWORD dst_unused:UNUSED_PAD src0_sel:WORD_1 src1_sel:DWORD
	v_sub_f16_e32 v56, v36, v35
	v_mul_f16_e32 v81, 0xbbeb, v52
	v_mul_f16_sdwa v14, v10, v24 dst_sel:DWORD dst_unused:UNUSED_PAD src0_sel:WORD_1 src1_sel:DWORD
	v_fmac_f16_e32 v27, v11, v4
	v_mul_f16_sdwa v11, v15, v21 dst_sel:DWORD dst_unused:UNUSED_PAD src0_sel:WORD_1 src1_sel:DWORD
	v_fma_f16 v4, v10, v24, -v32
	v_add_f16_e32 v58, v28, v33
	v_fmamk_f16 v85, v53, 0xb08e, v81
	v_mul_f16_e32 v86, 0x3482, v56
	v_fmac_f16_e32 v11, v15, v2
	v_mul_f16_sdwa v15, v8, v3 dst_sel:DWORD dst_unused:UNUSED_PAD src0_sel:WORD_1 src1_sel:DWORD
	v_mul_f16_sdwa v2, v9, v17 dst_sel:DWORD dst_unused:UNUSED_PAD src0_sel:WORD_1 src1_sel:DWORD
	v_mul_f16_e32 v54, 0xb482, v52
	v_fmac_f16_e32 v14, v10, v18
	v_sub_f16_e32 v61, v7, v4
	v_fma_f16 v15, v8, v29, -v15
	v_mul_f16_sdwa v29, v8, v29 dst_sel:DWORD dst_unused:UNUSED_PAD src0_sel:WORD_1 src1_sel:DWORD
	v_fma_f16 v2, v9, v20, -v2
	v_mul_f16_sdwa v20, v9, v20 dst_sel:DWORD dst_unused:UNUSED_PAD src0_sel:WORD_1 src1_sel:DWORD
	v_add_f16_e32 v85, v0, v85
	v_fmamk_f16 v88, v58, 0xbbad, v86
	v_fmac_f16_e32 v29, v8, v3
	v_sub_f16_e32 v3, v22, v30
	v_fmac_f16_e32 v20, v9, v17
	v_add_f16_e32 v17, v27, v50
	v_add_f16_e32 v23, v0, v23
	v_fmamk_f16 v57, v53, 0xbbad, v54
	v_mul_f16_e32 v89, 0x3b47, v3
	v_mul_f16_e32 v59, 0x3853, v56
	v_add_f16_e32 v51, v30, v22
	v_add_f16_e32 v63, v14, v11
	;; [unrolled: 1-line block ×3, first 2 shown]
	v_fmamk_f16 v88, v17, 0x36a6, v89
	v_mul_f16_e32 v91, 0xb853, v61
	v_add_f16_e32 v34, v34, v19
	v_add_f16_e32 v23, v33, v23
	;; [unrolled: 1-line block ×3, first 2 shown]
	v_fmamk_f16 v9, v58, 0x3abb, v59
	v_mul_f16_e32 v57, 0xba0c, v3
	v_mul_f16_e32 v21, 0xb93d, v51
	v_sub_f16_e32 v24, v50, v27
	v_add_f16_e32 v32, v4, v7
	v_add_f16_e32 v85, v88, v85
	v_fmamk_f16 v88, v63, 0x3abb, v91
	v_add_f16_e32 v33, v36, v34
	v_add_f16_e32 v23, v50, v23
	;; [unrolled: 1-line block ×3, first 2 shown]
	v_fmamk_f16 v9, v17, 0xb93d, v57
	v_mul_f16_e32 v64, 0x3b47, v61
	v_fmamk_f16 v10, v24, 0x3a0c, v21
	v_mul_f16_e32 v18, 0x36a6, v32
	v_sub_f16_e32 v49, v11, v14
	v_add_f16_e32 v55, v2, v15
	v_mul_f16_e32 v69, 0xba0c, v52
	v_add_f16_e32 v85, v88, v85
	v_mul_f16_e32 v88, 0xbb47, v52
	v_mul_f16_e32 v52, 0xb853, v52
	v_add_f16_e32 v22, v22, v33
	v_add_f16_e32 v11, v11, v23
	;; [unrolled: 1-line block ×3, first 2 shown]
	v_fmamk_f16 v9, v63, 0x36a6, v64
	v_mul_f16_e32 v65, 0xb93d, v48
	v_add_f16_e32 v10, v10, v26
	v_fmamk_f16 v26, v49, 0xbb47, v18
	v_mul_f16_e32 v60, 0xb08e, v55
	v_sub_f16_e32 v62, v29, v20
	v_fmamk_f16 v34, v53, 0x3abb, v52
	v_mul_f16_e32 v36, 0xbb47, v56
	v_add_f16_e32 v7, v7, v22
	v_add_f16_e32 v11, v29, v11
	;; [unrolled: 1-line block ×3, first 2 shown]
	v_fmamk_f16 v9, v13, 0x3a0c, v65
	v_mul_f16_e32 v66, 0xb08e, v12
	v_add_f16_e32 v10, v26, v10
	v_fmamk_f16 v26, v62, 0x3beb, v60
	v_mul_f16_e32 v77, 0xb853, v3
	v_mul_f16_e32 v100, 0x3482, v3
	v_add_f16_e32 v33, v0, v34
	v_fmamk_f16 v34, v58, 0x36a6, v36
	v_mul_f16_e32 v3, 0xbbeb, v3
	v_add_f16_e32 v7, v15, v7
	v_add_f16_e32 v11, v20, v11
	;; [unrolled: 1-line block ×3, first 2 shown]
	v_fmamk_f16 v70, v1, 0xbbeb, v66
	v_mul_f16_e32 v71, 0x3abb, v51
	v_add_f16_e32 v10, v26, v10
	v_sub_f16_e32 v26, v15, v2
	v_add_f16_e32 v67, v20, v29
	v_add_f16_e32 v23, v34, v33
	v_fmamk_f16 v33, v17, 0xb08e, v3
	v_mul_f16_e32 v29, 0xba0c, v61
	v_add_f16_e32 v2, v2, v7
	v_add_f16_e32 v11, v14, v11
	v_add_f16_e32 v9, v70, v9
	v_fmamk_f16 v70, v24, 0x3853, v71
	v_mul_f16_e32 v75, 0xbbad, v32
	v_add_f16_e32 v23, v33, v23
	v_fmac_f16_e32 v6, 0xb482, v13
	v_fmamk_f16 v7, v63, 0xb93d, v29
	v_mul_f16_e32 v20, 0xb482, v26
	v_add_f16_e32 v2, v4, v2
	v_add_f16_e32 v11, v27, v11
	v_mul_f16_e32 v68, 0xbbeb, v26
	v_add_f16_e32 v9, v70, v9
	v_fmamk_f16 v70, v49, 0x3482, v75
	v_mul_f16_e32 v78, 0x36a6, v55
	v_add_f16_e32 v4, v19, v6
	v_add_f16_e32 v6, v7, v23
	v_fmamk_f16 v7, v67, 0xbbad, v20
	v_add_f16_e32 v2, v30, v2
	v_add_f16_e32 v11, v28, v11
	v_fmamk_f16 v72, v67, 0xb08e, v68
	v_add_f16_e32 v9, v70, v9
	v_fmamk_f16 v70, v62, 0xbb47, v78
	v_mul_f16_e32 v80, 0xb08e, v48
	v_add_f16_e32 v6, v7, v6
	v_add_f16_e32 v2, v35, v2
	;; [unrolled: 1-line block ×3, first 2 shown]
	v_fma_f16 v11, v53, 0xbbad, -v54
	v_add_f16_e32 v8, v72, v8
	v_add_f16_e32 v9, v70, v9
	v_fmamk_f16 v70, v13, 0x3beb, v80
	v_mul_f16_e32 v72, 0xbbad, v12
	v_fmamk_f16 v73, v53, 0xb93d, v69
	v_mul_f16_e32 v74, 0x3beb, v56
	v_add_f16_e32 v2, v5, v2
	v_add_f16_e32 v5, v0, v11
	v_fma_f16 v11, v58, 0x3abb, -v59
	v_add_f16_e32 v70, v19, v70
	v_fmamk_f16 v82, v1, 0xb482, v72
	v_mul_f16_e32 v83, 0x36a6, v51
	v_add_f16_e32 v73, v0, v73
	v_fmamk_f16 v76, v58, 0xb08e, v74
	v_add_f16_e32 v5, v11, v5
	v_fma_f16 v11, v17, 0xb93d, -v57
	v_add_f16_e32 v70, v82, v70
	v_fmamk_f16 v82, v24, 0xbb47, v83
	v_mul_f16_e32 v87, 0x3abb, v32
	v_fmamk_f16 v96, v53, 0x36a6, v88
	v_mul_f16_e32 v97, 0xba0c, v56
	v_add_f16_e32 v73, v76, v73
	v_fmamk_f16 v76, v17, 0x3abb, v77
	v_mul_f16_e32 v79, 0xb482, v61
	v_fmac_f16_e32 v25, 0x3853, v1
	v_add_f16_e32 v5, v11, v5
	v_fma_f16 v11, v63, 0x36a6, -v64
	v_add_f16_e32 v70, v82, v70
	v_fmamk_f16 v82, v49, 0x3853, v87
	v_add_f16_e32 v96, v0, v96
	v_fmamk_f16 v99, v58, 0xb93d, v97
	;; [unrolled: 2-line block ×3, first 2 shown]
	v_add_f16_e32 v4, v25, v4
	v_fmac_f16_e32 v21, 0xba0c, v24
	v_add_f16_e32 v5, v11, v5
	v_fma_f16 v11, v67, 0xb08e, -v68
	v_add_f16_e32 v70, v82, v70
	v_mul_f16_e32 v82, 0x36a6, v48
	v_add_f16_e32 v96, v99, v96
	v_fmamk_f16 v99, v17, 0xbbad, v100
	v_mul_f16_e32 v102, 0x3beb, v61
	v_mul_f16_e32 v48, 0x3abb, v48
	v_add_f16_e32 v73, v76, v73
	v_mul_f16_e32 v76, 0x3b47, v26
	v_add_f16_e32 v4, v21, v4
	v_fmac_f16_e32 v18, 0x3b47, v49
	v_add_f16_e32 v5, v11, v5
	v_fma_f16 v11, v53, 0xb08e, -v81
	v_mul_f16_e32 v93, 0xb93d, v12
	v_mul_f16_e32 v95, 0xba0c, v26
	v_add_f16_e32 v96, v99, v96
	v_fmamk_f16 v99, v63, 0xb08e, v102
	v_mul_f16_e32 v103, 0x3853, v26
	v_fmamk_f16 v104, v13, 0x3853, v48
	v_mul_f16_e32 v12, 0x36a6, v12
	;; [unrolled: 2-line block ×3, first 2 shown]
	v_add_f16_e32 v4, v18, v4
	v_fma_f16 v18, v53, 0xb93d, -v69
	v_add_f16_e32 v11, v0, v11
	v_fma_f16 v23, v58, 0xbbad, -v86
	v_mul_f16_e32 v94, 0xbbad, v51
	v_fmamk_f16 v101, v67, 0xb93d, v95
	v_add_f16_e32 v96, v99, v96
	v_fmamk_f16 v99, v67, 0x3abb, v103
	v_add_f16_e32 v104, v19, v104
	v_fmamk_f16 v106, v1, 0x3b47, v12
	v_mul_f16_e32 v51, 0xb08e, v51
	v_fmamk_f16 v92, v62, 0x3a0c, v90
	v_add_f16_e32 v73, v84, v73
	v_fmamk_f16 v84, v13, 0x3b47, v82
	v_add_f16_e32 v18, v0, v18
	v_fma_f16 v21, v58, 0xb08e, -v74
	v_fmac_f16_e32 v82, 0xbb47, v13
	v_add_f16_e32 v11, v23, v11
	v_fma_f16 v23, v17, 0x36a6, -v89
	v_mul_f16_e32 v98, 0xb08e, v32
	v_add_f16_e32 v85, v101, v85
	v_add_f16_e32 v96, v99, v96
	v_add_f16_e32 v99, v106, v104
	v_fmamk_f16 v101, v24, 0x3beb, v51
	v_mul_f16_e32 v32, 0xb93d, v32
	v_add_f16_e32 v70, v92, v70
	v_add_f16_e32 v84, v19, v84
	v_fmamk_f16 v92, v1, 0x3a0c, v93
	v_add_f16_e32 v18, v21, v18
	v_fma_f16 v21, v17, 0x3abb, -v77
	v_add_f16_e32 v26, v19, v82
	v_fmac_f16_e32 v93, 0xba0c, v1
	v_add_f16_e32 v11, v23, v11
	v_fma_f16 v23, v63, 0x3abb, -v91
	v_add_f16_e32 v99, v101, v99
	v_fmamk_f16 v101, v49, 0x3a0c, v32
	v_mul_f16_e32 v22, 0xbbad, v55
	v_add_f16_e32 v84, v92, v84
	v_fmamk_f16 v92, v24, 0xb482, v94
	v_add_f16_e32 v18, v21, v18
	v_fma_f16 v21, v63, 0xbbad, -v79
	v_add_f16_e32 v26, v93, v26
	v_fmac_f16_e32 v94, 0x3482, v24
	v_add_f16_e32 v11, v23, v11
	v_fma_f16 v23, v67, 0xb93d, -v95
	v_add_f16_e32 v56, v101, v99
	v_fmamk_f16 v15, v62, 0x3482, v22
	v_fmac_f16_e32 v65, 0xba0c, v13
	v_add_f16_e32 v84, v92, v84
	v_fmamk_f16 v92, v49, 0xbbeb, v98
	v_fmac_f16_e32 v80, 0xbbeb, v13
	v_add_f16_e32 v18, v21, v18
	v_fma_f16 v25, v67, 0x36a6, -v76
	v_add_f16_e32 v26, v94, v26
	v_fmac_f16_e32 v98, 0x3beb, v49
	v_add_f16_e32 v11, v23, v11
	v_fma_f16 v23, v53, 0x36a6, -v88
	v_fmac_f16_e32 v48, 0xb853, v13
	v_fma_f16 v13, v53, 0x3abb, -v52
	v_add_f16_e32 v14, v15, v56
	v_add_f16_e32 v15, v19, v65
	v_fmac_f16_e32 v66, 0x3beb, v1
	v_add_f16_e32 v21, v19, v80
	v_fmac_f16_e32 v72, 0x3482, v1
	v_add_f16_e32 v18, v25, v18
	v_add_f16_e32 v25, v98, v26
	;; [unrolled: 1-line block ×3, first 2 shown]
	v_fma_f16 v26, v58, 0xb93d, -v97
	v_add_f16_e32 v19, v19, v48
	v_fmac_f16_e32 v12, 0xbb47, v1
	v_add_f16_e32 v0, v0, v13
	v_fma_f16 v1, v58, 0x36a6, -v36
	v_add_f16_e32 v15, v66, v15
	v_fmac_f16_e32 v71, 0xb853, v24
	v_add_f16_e32 v21, v72, v21
	v_fmac_f16_e32 v83, 0x3b47, v24
	v_add_f16_e32 v13, v26, v23
	v_fma_f16 v23, v17, 0xbbad, -v100
	v_add_f16_e32 v12, v12, v19
	v_fmac_f16_e32 v51, 0xbbeb, v24
	v_add_f16_e32 v0, v1, v0
	v_fma_f16 v1, v17, 0xb08e, -v3
	v_add_f16_e32 v84, v92, v84
	v_mul_f16_e32 v92, 0x3abb, v55
	v_add_f16_e32 v15, v71, v15
	v_fmac_f16_e32 v75, 0xb482, v49
	v_add_f16_e32 v21, v83, v21
	v_fmac_f16_e32 v87, 0xb853, v49
	v_add_f16_e32 v3, v23, v13
	v_fma_f16 v13, v63, 0xb08e, -v102
	v_add_f16_e32 v12, v51, v12
	v_fmac_f16_e32 v32, 0xba0c, v49
	v_add_f16_e32 v0, v1, v0
	v_fma_f16 v1, v63, 0xb93d, -v29
	v_fmamk_f16 v105, v62, 0xb853, v92
	v_fmac_f16_e32 v60, 0xbbeb, v62
	v_add_f16_e32 v15, v75, v15
	v_fmac_f16_e32 v78, 0x3b47, v62
	v_add_f16_e32 v21, v87, v21
	v_fmac_f16_e32 v90, 0xba0c, v62
	v_fmac_f16_e32 v92, 0x3853, v62
	v_add_f16_e32 v3, v13, v3
	v_fma_f16 v13, v67, 0x3abb, -v103
	v_add_f16_e32 v12, v32, v12
	v_fmac_f16_e32 v22, 0xb482, v62
	v_add_f16_e32 v0, v1, v0
	v_fma_f16 v1, v67, 0xbbad, -v20
	v_add_f16_e32 v84, v105, v84
	v_pack_b32_f16 v2, v7, v2
	v_pack_b32_f16 v6, v6, v14
	v_add_f16_e32 v4, v60, v4
	v_add_f16_e32 v15, v78, v15
	;; [unrolled: 1-line block ×7, first 2 shown]
	ds_write2_b32 v37, v2, v6 offset1:99
	v_pack_b32_f16 v1, v96, v84
	v_pack_b32_f16 v2, v85, v70
	v_add_nc_u32_e32 v6, 0x200, v37
	v_pack_b32_f16 v9, v73, v9
	v_pack_b32_f16 v8, v8, v10
	v_add_nc_u32_e32 v10, 0x400, v37
	;; [unrolled: 3-line block ×4, first 2 shown]
	v_pack_b32_f16 v0, v0, v12
	ds_write2_b32 v6, v1, v2 offset0:70 offset1:169
	ds_write2_b32 v10, v9, v8 offset0:140 offset1:239
	;; [unrolled: 1-line block ×4, first 2 shown]
	ds_write_b32 v37, v0 offset:3960
.LBB0_17:
	s_or_b32 exec_lo, exec_lo, s0
	s_waitcnt lgkmcnt(0)
	s_barrier
	buffer_gl0_inv
	ds_read2_b32 v[3:4], v37 offset1:121
	v_add_nc_u32_e32 v0, 0x200, v37
	v_mad_u64_u32 v[9:10], null, s6, v16, 0
	s_mov_b32 s8, 0xa3611655
	s_mov_b32 s9, 0x3f4e1709
	ds_read2_b32 v[0:1], v0 offset0:114 offset1:235
	s_mul_hi_u32 s3, s4, 0x5ac
	s_mul_i32 s6, s4, 0x5ac
	s_waitcnt lgkmcnt(1)
	v_lshrrev_b32_e32 v2, 16, v3
	v_mul_f16_sdwa v5, v47, v3 dst_sel:DWORD dst_unused:UNUSED_PAD src0_sel:WORD_1 src1_sel:DWORD
	v_mul_f16_sdwa v6, v47, v2 dst_sel:DWORD dst_unused:UNUSED_PAD src0_sel:WORD_1 src1_sel:DWORD
	v_fma_f16 v2, v47, v2, -v5
	s_waitcnt lgkmcnt(0)
	v_lshrrev_b32_e32 v11, 16, v1
	v_mul_f16_sdwa v7, v46, v1 dst_sel:DWORD dst_unused:UNUSED_PAD src0_sel:WORD_1 src1_sel:DWORD
	v_fmac_f16_e32 v6, v47, v3
	v_cvt_f32_f16_e32 v5, v2
	v_add_nc_u32_e32 v3, 0xa00, v37
	v_fma_f16 v12, v46, v11, -v7
	v_mul_f16_sdwa v15, v46, v11 dst_sel:DWORD dst_unused:UNUSED_PAD src0_sel:WORD_1 src1_sel:DWORD
	v_cvt_f32_f16_e32 v8, v6
	v_cvt_f64_f32_e32 v[5:6], v5
	ds_read2_b32 v[2:3], v3 offset0:86 offset1:207
	v_cvt_f32_f16_e32 v13, v12
	v_fmac_f16_e32 v15, v46, v1
	v_cvt_f64_f32_e32 v[7:8], v8
	v_mad_u64_u32 v[11:12], null, s4, v44, 0
	v_cvt_f64_f32_e32 v[13:14], v13
	v_mov_b32_e32 v1, v10
	v_cvt_f32_f16_e32 v17, v15
	v_mov_b32_e32 v10, v12
	v_mad_u64_u32 v[18:19], null, s5, v44, v[10:11]
	s_waitcnt lgkmcnt(0)
	v_mad_u64_u32 v[15:16], null, s7, v16, v[1:2]
	v_mul_f64 v[5:6], v[5:6], s[8:9]
	v_cvt_f64_f32_e32 v[16:17], v17
	v_lshrrev_b32_e32 v20, 16, v2
	v_mul_f64 v[7:8], v[7:8], s[8:9]
	v_mov_b32_e32 v12, v18
	v_mov_b32_e32 v10, v15
	v_mul_f16_sdwa v19, v45, v20 dst_sel:DWORD dst_unused:UNUSED_PAD src0_sel:WORD_1 src1_sel:DWORD
	v_mul_f16_sdwa v15, v45, v2 dst_sel:DWORD dst_unused:UNUSED_PAD src0_sel:WORD_1 src1_sel:DWORD
	v_fmac_f16_e32 v19, v45, v2
	v_lshlrev_b64 v[1:2], 2, v[9:10]
	v_mul_f64 v[9:10], v[13:14], s[8:9]
	v_fma_f16 v13, v45, v20, -v15
	v_cvt_f32_f16_e32 v14, v19
	v_add_co_u32 v15, vcc_lo, s12, v1
	v_add_co_ci_u32_e32 v18, vcc_lo, s13, v2, vcc_lo
	v_and_or_b32 v5, 0x1ff, v6, v5
	v_cvt_f32_f16_e32 v19, v13
	v_cvt_f64_f32_e32 v[1:2], v14
	v_mul_f64 v[13:14], v[16:17], s[8:9]
	v_and_or_b32 v7, 0x1ff, v8, v7
	v_cmp_ne_u32_e32 vcc_lo, 0, v5
	v_lshrrev_b32_e32 v16, 8, v6
	v_lshrrev_b32_e32 v20, 8, v8
	v_bfe_u32 v21, v8, 20, 11
	v_bfe_u32 v17, v6, 20, 11
	v_cndmask_b32_e64 v5, 0, 1, vcc_lo
	v_cmp_ne_u32_e32 vcc_lo, 0, v7
	v_lshrrev_b32_e32 v8, 16, v8
	v_and_or_b32 v9, 0x1ff, v10, v9
	v_bfe_u32 v24, v10, 20, 11
	v_sub_nc_u32_e32 v25, 0x3f1, v21
	v_cndmask_b32_e64 v7, 0, 1, vcc_lo
	v_and_or_b32 v5, 0xffe, v16, v5
	v_cmp_ne_u32_e32 vcc_lo, 0, v9
	v_sub_nc_u32_e32 v22, 0x3f1, v17
	v_add_nc_u32_e32 v17, 0xfffffc10, v17
	v_and_or_b32 v7, 0xffe, v20, v7
	v_lshrrev_b32_e32 v23, 8, v10
	v_cndmask_b32_e64 v9, 0, 1, vcc_lo
	v_sub_nc_u32_e32 v27, 0x3f1, v24
	v_and_or_b32 v13, 0x1ff, v14, v13
	v_med3_i32 v20, v25, 0, 13
	v_cmp_ne_u32_e32 vcc_lo, 0, v5
	v_or_b32_e32 v29, 0x1000, v7
	v_med3_i32 v16, v22, 0, 13
	v_or_b32_e32 v25, 0x1000, v5
	v_lshl_or_b32 v28, v17, 12, v5
	v_cndmask_b32_e64 v5, 0, 1, vcc_lo
	v_cmp_ne_u32_e32 vcc_lo, 0, v13
	v_and_or_b32 v9, 0xffe, v23, v9
	v_med3_i32 v23, v27, 0, 13
	v_lshrrev_b32_e32 v27, v20, v29
	v_add_nc_u32_e32 v21, 0xfffffc10, v21
	v_cndmask_b32_e64 v13, 0, 1, vcc_lo
	v_lshrrev_b32_e32 v32, v16, v25
	v_cmp_ne_u32_e32 vcc_lo, 0, v7
	v_lshlrev_b32_e32 v20, v20, v27
	v_lshrrev_b32_e32 v22, 8, v14
	v_bfe_u32 v26, v14, 20, 11
	v_lshl_or_b32 v31, v21, 12, v7
	v_cndmask_b32_e64 v7, 0, 1, vcc_lo
	v_lshlrev_b32_e32 v16, v16, v32
	v_cmp_ne_u32_e32 vcc_lo, v20, v29
	v_sub_nc_u32_e32 v30, 0x3f1, v26
	v_and_or_b32 v13, 0xffe, v22, v13
	v_add_nc_u32_e32 v26, 0xfffffc10, v26
	v_lshl_or_b32 v7, v7, 9, 0x7c00
	v_cndmask_b32_e64 v20, 0, 1, vcc_lo
	v_cmp_ne_u32_e32 vcc_lo, v16, v25
	v_med3_i32 v22, v30, 0, 13
	v_or_b32_e32 v29, 0x1000, v13
	v_lshl_or_b32 v5, v5, 9, 0x7c00
	v_or_b32_e32 v20, v27, v20
	v_cndmask_b32_e64 v16, 0, 1, vcc_lo
	v_cmp_gt_i32_e32 vcc_lo, 1, v21
	v_lshrrev_b32_e32 v27, v22, v29
	v_or_b32_e32 v25, 0x1000, v9
	v_lshrrev_b32_e32 v6, 16, v6
	v_or_b32_e32 v16, v32, v16
	v_cndmask_b32_e32 v20, v31, v20, vcc_lo
	v_cmp_gt_i32_e32 vcc_lo, 1, v17
	v_lshlrev_b32_e32 v22, v22, v27
	v_lshrrev_b32_e32 v14, 16, v14
	v_lshrrev_b32_e32 v10, 16, v10
	v_and_b32_e32 v30, 7, v20
	v_cndmask_b32_e32 v16, v28, v16, vcc_lo
	v_cmp_ne_u32_e32 vcc_lo, v22, v29
	v_lshrrev_b32_e32 v20, 2, v20
	v_lshl_or_b32 v28, v26, 12, v13
	v_cmp_eq_u32_e64 s0, 3, v30
	v_and_b32_e32 v29, 7, v16
	v_cndmask_b32_e64 v22, 0, 1, vcc_lo
	v_cmp_lt_i32_e32 vcc_lo, 5, v30
	v_lshrrev_b32_e32 v16, 2, v16
	v_cmp_lt_i32_e64 s1, 5, v29
	v_cmp_eq_u32_e64 s2, 3, v29
	s_or_b32 vcc_lo, s0, vcc_lo
	v_or_b32_e32 v22, v27, v22
	v_add_co_ci_u32_e32 v20, vcc_lo, 0, v20, vcc_lo
	s_or_b32 vcc_lo, s2, s1
	v_add_co_ci_u32_e32 v16, vcc_lo, 0, v16, vcc_lo
	v_cmp_gt_i32_e32 vcc_lo, 31, v21
	v_cndmask_b32_e32 v20, 0x7c00, v20, vcc_lo
	v_cmp_gt_i32_e32 vcc_lo, 1, v26
	v_cndmask_b32_e32 v22, v28, v22, vcc_lo
	;; [unrolled: 2-line block ×3, first 2 shown]
	v_cmp_eq_u32_e32 vcc_lo, 0x40f, v21
	v_lshrrev_b32_e32 v21, v23, v25
	v_cndmask_b32_e32 v7, v20, v7, vcc_lo
	v_cmp_eq_u32_e32 vcc_lo, 0x40f, v17
	v_and_b32_e32 v20, 7, v22
	v_and_or_b32 v7, 0x8000, v8, v7
	v_cndmask_b32_e32 v5, v16, v5, vcc_lo
	v_cmp_lt_i32_e32 vcc_lo, 5, v20
	v_cmp_eq_u32_e64 s0, 3, v20
	v_lshrrev_b32_e32 v8, 2, v22
	v_add_nc_u32_e32 v22, 0xfffffc10, v24
	v_and_or_b32 v5, 0x8000, v6, v5
	v_and_b32_e32 v6, 0xffff, v7
	v_lshlrev_b32_e32 v7, v23, v21
	s_or_b32 vcc_lo, s0, vcc_lo
	v_add_co_ci_u32_e32 v16, vcc_lo, 0, v8, vcc_lo
	v_cmp_ne_u32_e32 vcc_lo, v7, v25
	v_lshl_or_b32 v17, v5, 16, v6
	v_cvt_f64_f32_e32 v[5:6], v19
	v_mul_f64 v[7:8], v[1:2], s[8:9]
	v_lshl_or_b32 v2, v22, 12, v9
	v_cndmask_b32_e64 v20, 0, 1, vcc_lo
	v_cmp_ne_u32_e32 vcc_lo, 0, v13
	v_or_b32_e32 v1, v21, v20
	v_cndmask_b32_e64 v13, 0, 1, vcc_lo
	v_cmp_gt_i32_e32 vcc_lo, 31, v26
	v_lshl_or_b32 v13, v13, 9, 0x7c00
	v_cndmask_b32_e32 v16, 0x7c00, v16, vcc_lo
	v_cmp_gt_i32_e32 vcc_lo, 1, v22
	v_cndmask_b32_e32 v19, v2, v1, vcc_lo
	v_cmp_eq_u32_e32 vcc_lo, 0x40f, v26
	v_lshlrev_b64 v[1:2], 2, v[11:12]
	v_mul_f64 v[5:6], v[5:6], s[8:9]
	v_cndmask_b32_e32 v13, v16, v13, vcc_lo
	v_and_b32_e32 v16, 7, v19
	v_add_co_u32 v11, vcc_lo, v15, v1
	v_add_co_ci_u32_e32 v12, vcc_lo, v18, v2, vcc_lo
	v_cmp_lt_i32_e32 vcc_lo, 5, v16
	v_cmp_eq_u32_e64 s0, 3, v16
	v_lshrrev_b32_e32 v1, 2, v19
	v_and_or_b32 v2, 0x1ff, v8, v7
	v_lshrrev_b32_e32 v7, 16, v4
	v_and_or_b32 v13, 0x8000, v14, v13
	s_or_b32 vcc_lo, s0, vcc_lo
	v_lshrrev_b32_e32 v14, 8, v8
	v_add_co_ci_u32_e32 v1, vcc_lo, 0, v1, vcc_lo
	v_cmp_ne_u32_e32 vcc_lo, 0, v2
	v_mul_f16_sdwa v16, v43, v7 dst_sel:DWORD dst_unused:UNUSED_PAD src0_sel:WORD_1 src1_sel:DWORD
	v_bfe_u32 v15, v8, 20, 11
	v_and_or_b32 v5, 0x1ff, v6, v5
	v_lshrrev_b32_e32 v20, 8, v6
	v_cndmask_b32_e64 v2, 0, 1, vcc_lo
	v_cmp_ne_u32_e32 vcc_lo, 0, v9
	v_fmac_f16_e32 v16, v43, v4
	v_bfe_u32 v21, v6, 20, 11
	v_and_b32_e32 v13, 0xffff, v13
	v_and_or_b32 v14, 0xffe, v14, v2
	v_cndmask_b32_e64 v9, 0, 1, vcc_lo
	v_cmp_gt_i32_e32 vcc_lo, 31, v22
	v_sub_nc_u32_e32 v2, 0x3f1, v15
	v_cvt_f32_f16_e32 v16, v16
	v_or_b32_e32 v18, 0x1000, v14
	v_lshl_or_b32 v9, v9, 9, 0x7c00
	v_cndmask_b32_e32 v1, 0x7c00, v1, vcc_lo
	v_cmp_eq_u32_e32 vcc_lo, 0x40f, v22
	v_med3_i32 v19, v2, 0, 13
	v_add_nc_u32_e32 v15, 0xfffffc10, v15
	s_mul_i32 s0, s5, 0x5ac
	v_lshrrev_b32_e32 v8, 16, v8
	v_cndmask_b32_e32 v9, v1, v9, vcc_lo
	v_cmp_ne_u32_e32 vcc_lo, 0, v5
	v_cvt_f64_f32_e32 v[1:2], v16
	v_lshrrev_b32_e32 v16, v19, v18
	s_add_i32 s3, s3, s0
	v_and_or_b32 v22, 0x8000, v10, v9
	v_cndmask_b32_e64 v5, 0, 1, vcc_lo
	global_store_dword v[11:12], v17, off
	v_lshlrev_b32_e32 v19, v19, v16
	v_and_or_b32 v20, 0xffe, v20, v5
	v_sub_nc_u32_e32 v5, 0x3f1, v21
	v_cmp_ne_u32_e32 vcc_lo, v19, v18
	v_lshl_or_b32 v19, v15, 12, v14
	v_or_b32_e32 v18, 0x1000, v20
	v_med3_i32 v5, v5, 0, 13
	v_cndmask_b32_e64 v9, 0, 1, vcc_lo
	v_cmp_gt_i32_e32 vcc_lo, 1, v15
	v_lshrrev_b32_e32 v23, v5, v18
	v_or_b32_e32 v16, v16, v9
	v_mul_f64 v[9:10], v[1:2], s[8:9]
	v_mul_f16_sdwa v2, v43, v4 dst_sel:DWORD dst_unused:UNUSED_PAD src0_sel:WORD_1 src1_sel:DWORD
	v_lshlrev_b32_e32 v4, v5, v23
	v_cndmask_b32_e32 v1, v19, v16, vcc_lo
	v_lshl_or_b32 v19, v22, 16, v13
	v_fma_f16 v2, v43, v7, -v2
	v_add_nc_u32_e32 v7, 0xfffffc10, v21
	v_cmp_ne_u32_e32 vcc_lo, v4, v18
	v_and_b32_e32 v5, 7, v1
	v_cvt_f32_f16_e32 v2, v2
	v_lshl_or_b32 v13, v7, 12, v20
	v_cndmask_b32_e64 v4, 0, 1, vcc_lo
	v_cmp_lt_i32_e32 vcc_lo, 5, v5
	v_cmp_eq_u32_e64 s0, 3, v5
	v_lshrrev_b32_e32 v5, 2, v1
	v_cmp_gt_i32_e64 s1, 1, v7
	v_or_b32_e32 v4, v23, v4
	v_cvt_f64_f32_e32 v[1:2], v2
	s_or_b32 vcc_lo, s0, vcc_lo
	v_add_nc_u32_e32 v23, 0x600, v37
	v_add_co_ci_u32_e32 v5, vcc_lo, 0, v5, vcc_lo
	v_cndmask_b32_e64 v13, v13, v4, s1
	v_and_or_b32 v4, 0x1ff, v10, v9
	v_cmp_ne_u32_e32 vcc_lo, 0, v14
	v_lshrrev_b32_e32 v16, 8, v10
	v_bfe_u32 v18, v10, 20, 11
	v_and_b32_e32 v14, 7, v13
	v_lshrrev_b32_e32 v13, 2, v13
	v_cndmask_b32_e64 v9, 0, 1, vcc_lo
	v_cmp_ne_u32_e32 vcc_lo, 0, v4
	v_sub_nc_u32_e32 v22, 0x3f1, v18
	v_cmp_eq_u32_e64 s0, 3, v14
	v_cmp_eq_u32_e64 s1, 0x40f, v15
	v_lshl_or_b32 v9, v9, 9, 0x7c00
	v_cndmask_b32_e64 v4, 0, 1, vcc_lo
	v_cmp_gt_i32_e32 vcc_lo, 31, v15
	v_med3_i32 v22, v22, 0, 13
	v_add_nc_u32_e32 v18, 0xfffffc10, v18
	v_lshrrev_b32_e32 v10, 16, v10
	v_and_or_b32 v16, 0xffe, v16, v4
	v_cndmask_b32_e32 v21, 0x7c00, v5, vcc_lo
	v_cmp_lt_i32_e32 vcc_lo, 5, v14
	v_mul_f64 v[4:5], v[1:2], s[8:9]
	ds_read2_b32 v[1:2], v23 offset0:100 offset1:221
	v_or_b32_e32 v14, 0x1000, v16
	v_cndmask_b32_e64 v9, v21, v9, s1
	s_or_b32 vcc_lo, s0, vcc_lo
	v_add_co_ci_u32_e32 v13, vcc_lo, 0, v13, vcc_lo
	v_lshrrev_b32_e32 v15, v22, v14
	v_cmp_ne_u32_e32 vcc_lo, 0, v20
	v_lshlrev_b32_e32 v21, v22, v15
	v_cndmask_b32_e64 v20, 0, 1, vcc_lo
	v_cmp_gt_i32_e32 vcc_lo, 31, v7
	v_and_or_b32 v22, 0x8000, v8, v9
	v_lshl_or_b32 v9, v20, 9, 0x7c00
	v_cndmask_b32_e32 v8, 0x7c00, v13, vcc_lo
	v_cmp_ne_u32_e32 vcc_lo, v21, v14
	v_and_or_b32 v4, 0x1ff, v5, v4
	s_waitcnt lgkmcnt(0)
	v_lshrrev_b32_e32 v14, 16, v1
	v_cndmask_b32_e64 v13, 0, 1, vcc_lo
	v_cmp_eq_u32_e32 vcc_lo, 0x40f, v7
	v_or_b32_e32 v7, v15, v13
	v_cndmask_b32_e32 v20, v8, v9, vcc_lo
	v_mul_f16_sdwa v9, v42, v14 dst_sel:DWORD dst_unused:UNUSED_PAD src0_sel:WORD_1 src1_sel:DWORD
	v_cmp_ne_u32_e32 vcc_lo, 0, v4
	v_lshl_or_b32 v8, v18, 12, v16
	v_bfe_u32 v15, v5, 20, 11
	v_lshrrev_b32_e32 v13, 8, v5
	v_fmac_f16_e32 v9, v42, v1
	v_cndmask_b32_e64 v4, 0, 1, vcc_lo
	v_cmp_gt_i32_e32 vcc_lo, 1, v18
	v_mul_f16_sdwa v1, v42, v1 dst_sel:DWORD dst_unused:UNUSED_PAD src0_sel:WORD_1 src1_sel:DWORD
	v_and_or_b32 v4, 0xffe, v13, v4
	v_cndmask_b32_e32 v21, v8, v7, vcc_lo
	v_sub_nc_u32_e32 v7, 0x3f1, v15
	v_cvt_f32_f16_e32 v8, v9
	v_lshrrev_b32_e32 v13, 16, v6
	v_or_b32_e32 v24, 0x1000, v4
	v_and_b32_e32 v23, 7, v21
	v_med3_i32 v25, v7, 0, 13
	v_cvt_f64_f32_e32 v[6:7], v8
	v_add_co_u32 v8, vcc_lo, v11, s6
	v_and_or_b32 v13, 0x8000, v13, v20
	v_and_b32_e32 v20, 0xffff, v22
	v_add_co_ci_u32_e32 v9, vcc_lo, s3, v12, vcc_lo
	v_cmp_lt_i32_e32 vcc_lo, 5, v23
	v_cmp_eq_u32_e64 s0, 3, v23
	v_lshl_or_b32 v20, v13, 16, v20
	v_lshrrev_b32_e32 v13, 2, v21
	v_lshrrev_b32_e32 v22, v25, v24
	v_fma_f16 v1, v42, v14, -v1
	s_or_b32 vcc_lo, s0, vcc_lo
	v_add_co_ci_u32_e32 v23, vcc_lo, 0, v13, vcc_lo
	v_lshlrev_b32_e32 v21, v25, v22
	v_cmp_ne_u32_e32 vcc_lo, 0, v16
	v_cvt_f32_f16_e32 v1, v1
	v_mul_f64 v[6:7], v[6:7], s[8:9]
	v_cndmask_b32_e64 v16, 0, 1, vcc_lo
	v_cmp_ne_u32_e32 vcc_lo, v21, v24
	v_cvt_f64_f32_e32 v[13:14], v1
	v_add_nc_u32_e32 v24, 0xfffffc10, v15
	v_cndmask_b32_e64 v21, 0, 1, vcc_lo
	v_cmp_gt_i32_e32 vcc_lo, 31, v18
	v_or_b32_e32 v21, v22, v21
	v_cndmask_b32_e32 v1, 0x7c00, v23, vcc_lo
	v_add_co_u32 v15, vcc_lo, v8, s6
	v_lshl_or_b32 v23, v16, 9, 0x7c00
	v_add_co_ci_u32_e32 v16, vcc_lo, s3, v9, vcc_lo
	v_lshl_or_b32 v22, v24, 12, v4
	v_cmp_gt_i32_e32 vcc_lo, 1, v24
	global_store_dword v[8:9], v19, off
	global_store_dword v[15:16], v20, off
	v_and_or_b32 v6, 0x1ff, v7, v6
	v_bfe_u32 v12, v7, 20, 11
	v_lshrrev_b32_e32 v19, 16, v5
	v_cndmask_b32_e32 v21, v22, v21, vcc_lo
	v_cmp_eq_u32_e32 vcc_lo, 0x40f, v18
	v_mul_f64 v[8:9], v[13:14], s[8:9]
	v_cmp_ne_u32_e64 s1, 0, v6
	v_lshrrev_b32_e32 v14, 16, v3
	v_and_b32_e32 v11, 7, v21
	v_cndmask_b32_e32 v1, v1, v23, vcc_lo
	v_cndmask_b32_e64 v6, 0, 1, s1
	v_mul_f16_sdwa v17, v41, v14 dst_sel:DWORD dst_unused:UNUSED_PAD src0_sel:WORD_1 src1_sel:DWORD
	v_cmp_lt_i32_e32 vcc_lo, 5, v11
	v_cmp_eq_u32_e64 s0, 3, v11
	v_and_or_b32 v1, 0x8000, v10, v1
	v_lshrrev_b32_e32 v10, 2, v21
	v_lshrrev_b32_e32 v11, 8, v7
	v_fmac_f16_e32 v17, v41, v3
	s_or_b32 vcc_lo, s0, vcc_lo
	v_mul_f16_sdwa v21, v41, v3 dst_sel:DWORD dst_unused:UNUSED_PAD src0_sel:WORD_1 src1_sel:DWORD
	v_add_co_ci_u32_e32 v10, vcc_lo, 0, v10, vcc_lo
	v_cmp_ne_u32_e32 vcc_lo, 0, v4
	v_and_or_b32 v13, 0xffe, v11, v6
	v_sub_nc_u32_e32 v6, 0x3f1, v12
	v_add_nc_u32_e32 v12, 0xfffffc10, v12
	v_and_or_b32 v8, 0x1ff, v9, v8
	v_cndmask_b32_e64 v4, 0, 1, vcc_lo
	v_cmp_gt_i32_e32 vcc_lo, 31, v24
	v_or_b32_e32 v11, 0x1000, v13
	v_med3_i32 v6, v6, 0, 13
	v_bfe_u32 v20, v9, 20, 11
	v_lshl_or_b32 v4, v4, 9, 0x7c00
	v_cndmask_b32_e32 v10, 0x7c00, v10, vcc_lo
	v_cmp_eq_u32_e32 vcc_lo, 0x40f, v24
	v_lshrrev_b32_e32 v18, v6, v11
	s_mul_i32 s0, s5, 0xfffff68c
	v_fma_f16 v14, v41, v14, -v21
	s_sub_i32 s5, s0, s4
	v_cndmask_b32_e32 v10, v10, v4, vcc_lo
	v_cvt_f32_f16_e32 v4, v17
	v_lshlrev_b32_e32 v6, v6, v18
	v_cmp_ne_u32_e32 vcc_lo, 0, v8
	v_lshrrev_b32_e32 v17, 8, v9
	v_and_or_b32 v19, 0x8000, v19, v10
	v_cvt_f64_f32_e32 v[4:5], v4
	v_sub_nc_u32_e32 v10, 0x3f1, v20
	v_cndmask_b32_e64 v8, 0, 1, vcc_lo
	v_cmp_ne_u32_e32 vcc_lo, v6, v11
	v_lshl_or_b32 v11, v12, 12, v13
	v_cvt_f32_f16_e32 v14, v14
	v_and_b32_e32 v1, 0xffff, v1
	v_and_or_b32 v8, 0xffe, v17, v8
	v_cndmask_b32_e64 v6, 0, 1, vcc_lo
	v_cmp_gt_i32_e32 vcc_lo, 1, v12
	v_lshrrev_b32_e32 v7, 16, v7
	v_lshl_or_b32 v1, v19, 16, v1
	v_or_b32_e32 v17, 0x1000, v8
	v_or_b32_e32 v6, v18, v6
	v_med3_i32 v18, v10, 0, 13
	v_lshrrev_b32_e32 v9, 16, v9
	v_cndmask_b32_e32 v6, v11, v6, vcc_lo
	v_mad_u64_u32 v[10:11], null, 0xfffff68c, s4, v[15:16]
	v_lshrrev_b32_e32 v15, v18, v17
	v_mul_f64 v[3:4], v[4:5], s[8:9]
	v_and_b32_e32 v16, 7, v6
	v_lshlrev_b32_e32 v5, v18, v15
	v_add_nc_u32_e32 v11, s5, v11
	v_cmp_lt_i32_e32 vcc_lo, 5, v16
	v_cmp_ne_u32_e64 s0, v5, v17
	v_add_nc_u32_e32 v17, 0xfffffc10, v20
	global_store_dword v[10:11], v1, off
	v_cndmask_b32_e64 v5, 0, 1, s0
	v_cmp_eq_u32_e64 s0, 3, v16
	v_lshrrev_b32_e32 v16, 2, v6
	v_lshl_or_b32 v18, v17, 12, v8
	v_or_b32_e32 v15, v15, v5
	s_or_b32 vcc_lo, s0, vcc_lo
	v_cvt_f64_f32_e32 v[5:6], v14
	v_add_co_ci_u32_e32 v14, vcc_lo, 0, v16, vcc_lo
	v_cmp_ne_u32_e32 vcc_lo, 0, v13
	v_and_or_b32 v3, 0x1ff, v4, v3
	v_bfe_u32 v19, v4, 20, 11
	v_cndmask_b32_e64 v13, 0, 1, vcc_lo
	v_cmp_gt_i32_e32 vcc_lo, 1, v17
	v_lshl_or_b32 v13, v13, 9, 0x7c00
	v_cndmask_b32_e32 v15, v18, v15, vcc_lo
	v_cmp_gt_i32_e32 vcc_lo, 31, v12
	v_lshrrev_b32_e32 v18, 8, v4
	v_and_b32_e32 v16, 7, v15
	v_cndmask_b32_e32 v14, 0x7c00, v14, vcc_lo
	v_cmp_ne_u32_e32 vcc_lo, 0, v3
	v_mul_f64 v[5:6], v[5:6], s[8:9]
	v_lshrrev_b32_e32 v15, 2, v15
	v_cmp_eq_u32_e64 s0, 3, v16
	v_cndmask_b32_e64 v3, 0, 1, vcc_lo
	v_cmp_eq_u32_e32 vcc_lo, 0x40f, v12
	v_and_or_b32 v3, 0xffe, v18, v3
	v_cndmask_b32_e32 v12, v14, v13, vcc_lo
	v_cmp_lt_i32_e32 vcc_lo, 5, v16
	v_sub_nc_u32_e32 v13, 0x3f1, v19
	v_lshrrev_b32_e32 v14, 16, v0
	v_or_b32_e32 v16, 0x1000, v3
	v_and_or_b32 v12, 0x8000, v7, v12
	s_or_b32 vcc_lo, s0, vcc_lo
	v_med3_i32 v13, v13, 0, 13
	v_add_co_ci_u32_e32 v15, vcc_lo, 0, v15, vcc_lo
	v_cmp_ne_u32_e32 vcc_lo, 0, v8
	v_mul_f16_sdwa v18, v40, v14 dst_sel:DWORD dst_unused:UNUSED_PAD src0_sel:WORD_1 src1_sel:DWORD
	v_lshrrev_b32_e32 v20, v13, v16
	v_and_or_b32 v5, 0x1ff, v6, v5
	v_and_b32_e32 v12, 0xffff, v12
	v_cndmask_b32_e64 v8, 0, 1, vcc_lo
	v_cmp_gt_i32_e32 vcc_lo, 31, v17
	v_fmac_f16_e32 v18, v40, v0
	v_lshlrev_b32_e32 v13, v13, v20
	v_lshl_or_b32 v8, v8, 9, 0x7c00
	v_cndmask_b32_e32 v15, 0x7c00, v15, vcc_lo
	v_cmp_eq_u32_e32 vcc_lo, 0x40f, v17
	v_cvt_f32_f16_e32 v7, v18
	v_lshrrev_b32_e32 v17, 8, v6
	v_bfe_u32 v18, v6, 20, 11
	v_lshrrev_b32_e32 v6, 16, v6
	v_cndmask_b32_e32 v15, v15, v8, vcc_lo
	v_cmp_ne_u32_e32 vcc_lo, v13, v16
	v_cvt_f64_f32_e32 v[7:8], v7
	v_add_nc_u32_e32 v16, 0xfffffc10, v19
	v_and_or_b32 v9, 0x8000, v9, v15
	v_cndmask_b32_e64 v13, 0, 1, vcc_lo
	v_cmp_ne_u32_e32 vcc_lo, 0, v5
	v_lshl_or_b32 v15, v16, 12, v3
	v_lshl_or_b32 v19, v9, 16, v12
	v_or_b32_e32 v13, v20, v13
	v_cndmask_b32_e64 v5, 0, 1, vcc_lo
	v_cmp_gt_i32_e32 vcc_lo, 1, v16
	v_mul_f16_sdwa v20, v40, v0 dst_sel:DWORD dst_unused:UNUSED_PAD src0_sel:WORD_1 src1_sel:DWORD
	v_and_or_b32 v5, 0xffe, v17, v5
	v_sub_nc_u32_e32 v17, 0x3f1, v18
	v_cndmask_b32_e32 v13, v15, v13, vcc_lo
	v_add_co_u32 v0, vcc_lo, v10, s6
	v_or_b32_e32 v15, 0x1000, v5
	v_med3_i32 v17, v17, 0, 13
	v_mul_f64 v[7:8], v[7:8], s[8:9]
	v_and_b32_e32 v9, 7, v13
	v_add_co_ci_u32_e32 v1, vcc_lo, s3, v11, vcc_lo
	v_lshrrev_b32_e32 v12, v17, v15
	v_fma_f16 v11, v40, v14, -v20
	v_cmp_lt_i32_e32 vcc_lo, 5, v9
	v_cmp_eq_u32_e64 s0, 3, v9
	v_lshrrev_b32_e32 v9, 2, v13
	v_lshlrev_b32_e32 v10, v17, v12
	s_or_b32 vcc_lo, s0, vcc_lo
	v_cmp_ne_u32_e64 s1, v10, v15
	v_cvt_f32_f16_e32 v10, v11
	v_add_co_ci_u32_e32 v14, vcc_lo, 0, v9, vcc_lo
	v_add_nc_u32_e32 v11, 0xfffffc10, v18
	v_cndmask_b32_e64 v13, 0, 1, s1
	v_cmp_ne_u32_e32 vcc_lo, 0, v3
	v_cvt_f64_f32_e32 v[9:10], v10
	v_and_or_b32 v7, 0x1ff, v8, v7
	v_bfe_u32 v15, v8, 20, 11
	v_or_b32_e32 v12, v12, v13
	v_lshl_or_b32 v13, v11, 12, v5
	v_cndmask_b32_e64 v3, 0, 1, vcc_lo
	v_cmp_gt_i32_e32 vcc_lo, 1, v11
	v_lshl_or_b32 v3, v3, 9, 0x7c00
	v_cndmask_b32_e32 v12, v13, v12, vcc_lo
	v_cmp_ne_u32_e32 vcc_lo, 0, v7
	v_lshrrev_b32_e32 v13, 8, v8
	v_lshrrev_b32_e32 v8, 16, v8
	v_and_b32_e32 v17, 7, v12
	v_cndmask_b32_e64 v7, 0, 1, vcc_lo
	v_cmp_gt_i32_e32 vcc_lo, 31, v16
	v_cmp_eq_u32_e64 s0, 3, v17
	v_and_or_b32 v7, 0xffe, v13, v7
	v_cndmask_b32_e32 v14, 0x7c00, v14, vcc_lo
	v_cmp_eq_u32_e32 vcc_lo, 0x40f, v16
	v_sub_nc_u32_e32 v13, 0x3f1, v15
	v_mul_f64 v[9:10], v[9:10], s[8:9]
	v_lshrrev_b32_e32 v16, 16, v4
	v_lshrrev_b32_e32 v4, 2, v12
	v_cndmask_b32_e32 v14, v14, v3, vcc_lo
	v_cmp_lt_i32_e32 vcc_lo, 5, v17
	v_or_b32_e32 v3, 0x1000, v7
	v_med3_i32 v13, v13, 0, 13
	v_lshrrev_b32_e32 v12, 16, v2
	v_and_or_b32 v14, 0x8000, v16, v14
	s_or_b32 vcc_lo, s0, vcc_lo
	v_add_co_ci_u32_e32 v4, vcc_lo, 0, v4, vcc_lo
	v_lshrrev_b32_e32 v17, v13, v3
	v_cmp_ne_u32_e32 vcc_lo, 0, v5
	v_mul_f16_sdwa v18, v39, v12 dst_sel:DWORD dst_unused:UNUSED_PAD src0_sel:WORD_1 src1_sel:DWORD
	v_lshlrev_b32_e32 v13, v13, v17
	v_cndmask_b32_e64 v5, 0, 1, vcc_lo
	v_cmp_gt_i32_e32 vcc_lo, 31, v11
	v_fmac_f16_e32 v18, v39, v2
	v_and_or_b32 v9, 0x1ff, v10, v9
	v_mul_f16_sdwa v2, v39, v2 dst_sel:DWORD dst_unused:UNUSED_PAD src0_sel:WORD_1 src1_sel:DWORD
	v_lshl_or_b32 v5, v5, 9, 0x7c00
	v_cndmask_b32_e32 v4, 0x7c00, v4, vcc_lo
	v_cmp_ne_u32_e32 vcc_lo, v13, v3
	v_add_nc_u32_e32 v13, 0xfffffc10, v15
	v_cvt_f32_f16_e32 v15, v18
	v_bfe_u32 v18, v10, 20, 11
	v_fma_f16 v2, v39, v12, -v2
	v_cndmask_b32_e64 v3, 0, 1, vcc_lo
	v_cmp_eq_u32_e32 vcc_lo, 0x40f, v11
	ds_read_b32 v12, v37 offset:3872
	v_cvt_f32_f16_e32 v2, v2
	v_or_b32_e32 v11, v17, v3
	v_cndmask_b32_e32 v5, v4, v5, vcc_lo
	v_cmp_ne_u32_e32 vcc_lo, 0, v9
	v_cvt_f64_f32_e32 v[3:4], v15
	v_lshl_or_b32 v15, v13, 12, v7
	v_lshrrev_b32_e32 v17, 8, v10
	v_and_or_b32 v5, 0x8000, v6, v5
	v_cndmask_b32_e64 v9, 0, 1, vcc_lo
	v_cmp_gt_i32_e32 vcc_lo, 1, v13
	v_and_b32_e32 v6, 0xffff, v14
	v_lshrrev_b32_e32 v10, 16, v10
	v_and_or_b32 v9, 0xffe, v17, v9
	v_cndmask_b32_e32 v11, v15, v11, vcc_lo
	v_sub_nc_u32_e32 v15, 0x3f1, v18
	v_or_b32_e32 v14, 0x1000, v9
	v_and_b32_e32 v16, 7, v11
	v_med3_i32 v15, v15, 0, 13
	v_cmp_lt_i32_e32 vcc_lo, 5, v16
	v_cmp_eq_u32_e64 s0, 3, v16
	v_lshl_or_b32 v16, v5, 16, v6
	v_lshrrev_b32_e32 v5, 2, v11
	v_mul_f64 v[3:4], v[3:4], s[8:9]
	v_lshrrev_b32_e32 v11, v15, v14
	s_or_b32 vcc_lo, s0, vcc_lo
	v_add_co_ci_u32_e32 v17, vcc_lo, 0, v5, vcc_lo
	v_add_co_u32 v5, vcc_lo, v0, s6
	v_add_co_ci_u32_e32 v6, vcc_lo, s3, v1, vcc_lo
	v_lshlrev_b32_e32 v15, v15, v11
	v_cmp_gt_i32_e32 vcc_lo, 31, v13
	v_cndmask_b32_e32 v17, 0x7c00, v17, vcc_lo
	v_cmp_ne_u32_e32 vcc_lo, v15, v14
	v_add_nc_u32_e32 v15, 0xfffffc10, v18
	v_cndmask_b32_e64 v14, 0, 1, vcc_lo
	v_cmp_ne_u32_e32 vcc_lo, 0, v7
	v_and_or_b32 v18, 0x1ff, v4, v3
	v_cvt_f64_f32_e32 v[2:3], v2
	v_bfe_u32 v20, v4, 20, 11
	v_or_b32_e32 v11, v11, v14
	v_cndmask_b32_e64 v7, 0, 1, vcc_lo
	v_lshl_or_b32 v14, v15, 12, v9
	v_cmp_gt_i32_e32 vcc_lo, 1, v15
	v_lshl_or_b32 v7, v7, 9, 0x7c00
	v_cndmask_b32_e32 v11, v14, v11, vcc_lo
	v_cmp_ne_u32_e32 vcc_lo, 0, v18
	v_lshrrev_b32_e32 v18, 8, v4
	v_lshrrev_b32_e32 v4, 16, v4
	v_cndmask_b32_e64 v14, 0, 1, vcc_lo
	v_cmp_eq_u32_e32 vcc_lo, 0x40f, v13
	v_and_or_b32 v13, 0xffe, v18, v14
	v_cndmask_b32_e32 v7, v17, v7, vcc_lo
	v_sub_nc_u32_e32 v14, 0x3f1, v20
	v_and_b32_e32 v17, 7, v11
	s_waitcnt lgkmcnt(0)
	v_lshrrev_b32_e32 v18, 16, v12
	v_or_b32_e32 v22, 0x1000, v13
	v_and_or_b32 v21, 0x8000, v8, v7
	v_med3_i32 v7, v14, 0, 13
	v_cmp_lt_i32_e32 vcc_lo, 5, v17
	v_cmp_eq_u32_e64 s0, 3, v17
	v_lshrrev_b32_e32 v11, 2, v11
	v_mul_f16_sdwa v8, v38, v18 dst_sel:DWORD dst_unused:UNUSED_PAD src0_sel:WORD_1 src1_sel:DWORD
	v_lshrrev_b32_e32 v14, v7, v22
	v_mul_f64 v[2:3], v[2:3], s[8:9]
	s_or_b32 vcc_lo, s0, vcc_lo
	v_add_co_ci_u32_e32 v11, vcc_lo, 0, v11, vcc_lo
	v_lshlrev_b32_e32 v17, v7, v14
	v_cmp_ne_u32_e32 vcc_lo, 0, v9
	v_fmac_f16_e32 v8, v38, v12
	v_mul_f16_sdwa v12, v38, v12 dst_sel:DWORD dst_unused:UNUSED_PAD src0_sel:WORD_1 src1_sel:DWORD
	v_cndmask_b32_e64 v9, 0, 1, vcc_lo
	v_cmp_ne_u32_e32 vcc_lo, v17, v22
	v_cvt_f32_f16_e32 v8, v8
	v_fma_f16 v12, v38, v18, -v12
	v_add_nc_u32_e32 v18, 0xfffffc10, v20
	v_lshl_or_b32 v9, v9, 9, 0x7c00
	v_cndmask_b32_e64 v17, 0, 1, vcc_lo
	v_cmp_gt_i32_e32 vcc_lo, 31, v15
	v_cvt_f64_f32_e32 v[7:8], v8
	v_cvt_f32_f16_e32 v12, v12
	v_or_b32_e32 v14, v14, v17
	v_cndmask_b32_e32 v20, 0x7c00, v11, vcc_lo
	v_cmp_eq_u32_e32 vcc_lo, 0x40f, v15
	v_cvt_f64_f32_e32 v[11:12], v12
	v_lshl_or_b32 v17, v18, 12, v13
	v_and_or_b32 v2, 0x1ff, v3, v2
	v_lshrrev_b32_e32 v15, 8, v3
	v_cndmask_b32_e32 v9, v20, v9, vcc_lo
	v_cmp_gt_i32_e32 vcc_lo, 1, v18
	v_and_or_b32 v22, 0x8000, v10, v9
	v_cndmask_b32_e32 v14, v17, v14, vcc_lo
	v_cmp_ne_u32_e32 vcc_lo, 0, v2
	v_bfe_u32 v17, v3, 20, 11
	v_lshrrev_b32_e32 v3, 16, v3
	v_and_b32_e32 v20, 7, v14
	v_cndmask_b32_e64 v2, 0, 1, vcc_lo
	v_mul_f64 v[7:8], v[7:8], s[8:9]
	v_sub_nc_u32_e32 v9, 0x3f1, v17
	v_lshrrev_b32_e32 v14, 2, v14
	v_cmp_lt_i32_e32 vcc_lo, 5, v20
	v_and_or_b32 v2, 0xffe, v15, v2
	v_cmp_eq_u32_e64 s0, 3, v20
	v_and_b32_e32 v15, 0xffff, v21
	v_med3_i32 v21, v9, 0, 13
	v_mul_f64 v[9:10], v[11:12], s[8:9]
	v_or_b32_e32 v20, 0x1000, v2
	s_or_b32 vcc_lo, s0, vcc_lo
	v_add_nc_u32_e32 v17, 0xfffffc10, v17
	v_add_co_ci_u32_e32 v14, vcc_lo, 0, v14, vcc_lo
	v_lshrrev_b32_e32 v23, v21, v20
	v_cmp_ne_u32_e32 vcc_lo, 0, v13
	v_mad_u64_u32 v[11:12], null, 0xfffff68c, s4, v[5:6]
	v_lshlrev_b32_e32 v21, v21, v23
	v_cndmask_b32_e64 v13, 0, 1, vcc_lo
	v_cmp_gt_i32_e32 vcc_lo, 31, v18
	v_and_or_b32 v7, 0x1ff, v8, v7
	v_bfe_u32 v24, v8, 20, 11
	v_add_nc_u32_e32 v12, s5, v12
	v_lshl_or_b32 v13, v13, 9, 0x7c00
	v_cndmask_b32_e32 v14, 0x7c00, v14, vcc_lo
	v_cmp_ne_u32_e32 vcc_lo, v21, v20
	v_lshrrev_b32_e32 v21, 8, v8
	v_and_or_b32 v9, 0x1ff, v10, v9
	v_lshrrev_b32_e32 v25, 8, v10
	v_cndmask_b32_e64 v20, 0, 1, vcc_lo
	v_cmp_ne_u32_e32 vcc_lo, 0, v7
	v_bfe_u32 v26, v10, 20, 11
	v_or_b32_e32 v20, v23, v20
	v_cndmask_b32_e64 v7, 0, 1, vcc_lo
	v_cmp_ne_u32_e32 vcc_lo, 0, v9
	v_lshl_or_b32 v23, v17, 12, v2
	v_and_or_b32 v7, 0xffe, v21, v7
	v_sub_nc_u32_e32 v21, 0x3f1, v24
	v_cndmask_b32_e64 v9, 0, 1, vcc_lo
	v_cmp_gt_i32_e32 vcc_lo, 1, v17
	v_med3_i32 v21, v21, 0, 13
	v_and_or_b32 v9, 0xffe, v25, v9
	v_cndmask_b32_e32 v20, v23, v20, vcc_lo
	v_or_b32_e32 v23, 0x1000, v7
	v_sub_nc_u32_e32 v25, 0x3f1, v26
	v_cmp_eq_u32_e32 vcc_lo, 0x40f, v18
	v_or_b32_e32 v27, 0x1000, v9
	v_and_b32_e32 v18, 7, v20
	v_lshrrev_b32_e32 v20, 2, v20
	v_med3_i32 v25, v25, 0, 13
	v_cndmask_b32_e32 v13, v14, v13, vcc_lo
	v_lshrrev_b32_e32 v14, v21, v23
	v_cmp_lt_i32_e32 vcc_lo, 5, v18
	v_cmp_eq_u32_e64 s0, 3, v18
	v_lshrrev_b32_e32 v18, v25, v27
	v_and_or_b32 v4, 0x8000, v4, v13
	v_lshlrev_b32_e32 v21, v21, v14
	s_or_b32 vcc_lo, s0, vcc_lo
	v_add_co_ci_u32_e32 v20, vcc_lo, 0, v20, vcc_lo
	v_cmp_ne_u32_e64 s1, v21, v23
	v_add_nc_u32_e32 v23, 0xfffffc10, v24
	v_lshlrev_b32_e32 v24, v25, v18
	v_add_nc_u32_e32 v25, 0xfffffc10, v26
	v_and_b32_e32 v4, 0xffff, v4
	v_cndmask_b32_e64 v21, 0, 1, s1
	v_cmp_ne_u32_e32 vcc_lo, v24, v27
	v_or_b32_e32 v14, v14, v21
	v_lshl_or_b32 v21, v23, 12, v7
	v_cndmask_b32_e64 v24, 0, 1, vcc_lo
	v_cmp_ne_u32_e32 vcc_lo, 0, v2
	v_or_b32_e32 v18, v18, v24
	v_cndmask_b32_e64 v2, 0, 1, vcc_lo
	v_cmp_gt_i32_e32 vcc_lo, 1, v23
	v_lshl_or_b32 v2, v2, 9, 0x7c00
	v_cndmask_b32_e32 v14, v21, v14, vcc_lo
	v_cmp_gt_i32_e32 vcc_lo, 31, v17
	v_lshl_or_b32 v21, v25, 12, v9
	v_and_b32_e32 v24, 7, v14
	v_cndmask_b32_e32 v20, 0x7c00, v20, vcc_lo
	v_cmp_gt_i32_e32 vcc_lo, 1, v25
	v_cmp_eq_u32_e64 s0, 3, v24
	v_cndmask_b32_e32 v18, v21, v18, vcc_lo
	v_cmp_eq_u32_e32 vcc_lo, 0x40f, v17
	v_and_b32_e32 v13, 7, v18
	v_cndmask_b32_e32 v2, v20, v2, vcc_lo
	v_cmp_lt_i32_e32 vcc_lo, 5, v24
	v_cmp_lt_i32_e64 s1, 5, v13
	v_and_or_b32 v2, 0x8000, v3, v2
	v_lshrrev_b32_e32 v3, 2, v14
	s_or_b32 vcc_lo, s0, vcc_lo
	v_cmp_eq_u32_e64 s2, 3, v13
	v_lshrrev_b32_e32 v13, 2, v18
	v_lshl_or_b32 v4, v2, 16, v4
	v_add_co_ci_u32_e32 v3, vcc_lo, 0, v3, vcc_lo
	v_cmp_ne_u32_e32 vcc_lo, 0, v7
	v_cndmask_b32_e64 v7, 0, 1, vcc_lo
	s_or_b32 vcc_lo, s2, s1
	v_add_co_ci_u32_e32 v13, vcc_lo, 0, v13, vcc_lo
	v_cmp_ne_u32_e32 vcc_lo, 0, v9
	v_lshl_or_b32 v7, v7, 9, 0x7c00
	v_cndmask_b32_e64 v9, 0, 1, vcc_lo
	v_cmp_gt_i32_e32 vcc_lo, 31, v23
	v_lshl_or_b32 v9, v9, 9, 0x7c00
	v_cndmask_b32_e32 v3, 0x7c00, v3, vcc_lo
	v_cmp_gt_i32_e32 vcc_lo, 31, v25
	v_cndmask_b32_e32 v13, 0x7c00, v13, vcc_lo
	v_cmp_eq_u32_e32 vcc_lo, 0x40f, v23
	v_cndmask_b32_e32 v3, v3, v7, vcc_lo
	v_lshrrev_b32_e32 v7, 16, v8
	v_cmp_eq_u32_e32 vcc_lo, 0x40f, v25
	v_and_or_b32 v3, 0x8000, v7, v3
	v_cndmask_b32_e32 v8, v13, v9, vcc_lo
	v_lshrrev_b32_e32 v9, 16, v10
	v_add_co_u32 v2, vcc_lo, v11, s6
	v_lshl_or_b32 v10, v22, 16, v15
	v_and_or_b32 v7, 0x8000, v9, v8
	v_and_b32_e32 v8, 0xffff, v3
	v_add_co_ci_u32_e32 v3, vcc_lo, s3, v12, vcc_lo
	v_lshl_or_b32 v9, v7, 16, v8
	v_add_co_u32 v7, vcc_lo, v2, s6
	v_add_co_ci_u32_e32 v8, vcc_lo, s3, v3, vcc_lo
	global_store_dword v[0:1], v19, off
	global_store_dword v[5:6], v16, off
	global_store_dword v[11:12], v10, off
	global_store_dword v[2:3], v4, off
	global_store_dword v[7:8], v9, off
.LBB0_18:
	s_endpgm
	.section	.rodata,"a",@progbits
	.p2align	6, 0x0
	.amdhsa_kernel bluestein_single_back_len1089_dim1_half_op_CI_CI
		.amdhsa_group_segment_fixed_size 4356
		.amdhsa_private_segment_fixed_size 0
		.amdhsa_kernarg_size 104
		.amdhsa_user_sgpr_count 6
		.amdhsa_user_sgpr_private_segment_buffer 1
		.amdhsa_user_sgpr_dispatch_ptr 0
		.amdhsa_user_sgpr_queue_ptr 0
		.amdhsa_user_sgpr_kernarg_segment_ptr 1
		.amdhsa_user_sgpr_dispatch_id 0
		.amdhsa_user_sgpr_flat_scratch_init 0
		.amdhsa_user_sgpr_private_segment_size 0
		.amdhsa_wavefront_size32 1
		.amdhsa_uses_dynamic_stack 0
		.amdhsa_system_sgpr_private_segment_wavefront_offset 0
		.amdhsa_system_sgpr_workgroup_id_x 1
		.amdhsa_system_sgpr_workgroup_id_y 0
		.amdhsa_system_sgpr_workgroup_id_z 0
		.amdhsa_system_sgpr_workgroup_info 0
		.amdhsa_system_vgpr_workitem_id 0
		.amdhsa_next_free_vgpr 161
		.amdhsa_next_free_sgpr 20
		.amdhsa_reserve_vcc 1
		.amdhsa_reserve_flat_scratch 0
		.amdhsa_float_round_mode_32 0
		.amdhsa_float_round_mode_16_64 0
		.amdhsa_float_denorm_mode_32 3
		.amdhsa_float_denorm_mode_16_64 3
		.amdhsa_dx10_clamp 1
		.amdhsa_ieee_mode 1
		.amdhsa_fp16_overflow 0
		.amdhsa_workgroup_processor_mode 1
		.amdhsa_memory_ordered 1
		.amdhsa_forward_progress 0
		.amdhsa_shared_vgpr_count 0
		.amdhsa_exception_fp_ieee_invalid_op 0
		.amdhsa_exception_fp_denorm_src 0
		.amdhsa_exception_fp_ieee_div_zero 0
		.amdhsa_exception_fp_ieee_overflow 0
		.amdhsa_exception_fp_ieee_underflow 0
		.amdhsa_exception_fp_ieee_inexact 0
		.amdhsa_exception_int_div_zero 0
	.end_amdhsa_kernel
	.text
.Lfunc_end0:
	.size	bluestein_single_back_len1089_dim1_half_op_CI_CI, .Lfunc_end0-bluestein_single_back_len1089_dim1_half_op_CI_CI
                                        ; -- End function
	.section	.AMDGPU.csdata,"",@progbits
; Kernel info:
; codeLenInByte = 19792
; NumSgprs: 22
; NumVgprs: 161
; ScratchSize: 0
; MemoryBound: 0
; FloatMode: 240
; IeeeMode: 1
; LDSByteSize: 4356 bytes/workgroup (compile time only)
; SGPRBlocks: 2
; VGPRBlocks: 20
; NumSGPRsForWavesPerEU: 22
; NumVGPRsForWavesPerEU: 161
; Occupancy: 5
; WaveLimiterHint : 1
; COMPUTE_PGM_RSRC2:SCRATCH_EN: 0
; COMPUTE_PGM_RSRC2:USER_SGPR: 6
; COMPUTE_PGM_RSRC2:TRAP_HANDLER: 0
; COMPUTE_PGM_RSRC2:TGID_X_EN: 1
; COMPUTE_PGM_RSRC2:TGID_Y_EN: 0
; COMPUTE_PGM_RSRC2:TGID_Z_EN: 0
; COMPUTE_PGM_RSRC2:TIDIG_COMP_CNT: 0
	.text
	.p2alignl 6, 3214868480
	.fill 48, 4, 3214868480
	.type	__hip_cuid_6f4af9652fffa199,@object ; @__hip_cuid_6f4af9652fffa199
	.section	.bss,"aw",@nobits
	.globl	__hip_cuid_6f4af9652fffa199
__hip_cuid_6f4af9652fffa199:
	.byte	0                               ; 0x0
	.size	__hip_cuid_6f4af9652fffa199, 1

	.ident	"AMD clang version 19.0.0git (https://github.com/RadeonOpenCompute/llvm-project roc-6.4.0 25133 c7fe45cf4b819c5991fe208aaa96edf142730f1d)"
	.section	".note.GNU-stack","",@progbits
	.addrsig
	.addrsig_sym __hip_cuid_6f4af9652fffa199
	.amdgpu_metadata
---
amdhsa.kernels:
  - .args:
      - .actual_access:  read_only
        .address_space:  global
        .offset:         0
        .size:           8
        .value_kind:     global_buffer
      - .actual_access:  read_only
        .address_space:  global
        .offset:         8
        .size:           8
        .value_kind:     global_buffer
      - .actual_access:  read_only
        .address_space:  global
        .offset:         16
        .size:           8
        .value_kind:     global_buffer
      - .actual_access:  read_only
        .address_space:  global
        .offset:         24
        .size:           8
        .value_kind:     global_buffer
      - .actual_access:  read_only
        .address_space:  global
        .offset:         32
        .size:           8
        .value_kind:     global_buffer
      - .offset:         40
        .size:           8
        .value_kind:     by_value
      - .address_space:  global
        .offset:         48
        .size:           8
        .value_kind:     global_buffer
      - .address_space:  global
        .offset:         56
        .size:           8
        .value_kind:     global_buffer
      - .address_space:  global
        .offset:         64
        .size:           8
        .value_kind:     global_buffer
      - .address_space:  global
        .offset:         72
        .size:           8
        .value_kind:     global_buffer
      - .offset:         80
        .size:           4
        .value_kind:     by_value
      - .address_space:  global
        .offset:         88
        .size:           8
        .value_kind:     global_buffer
      - .address_space:  global
        .offset:         96
        .size:           8
        .value_kind:     global_buffer
    .group_segment_fixed_size: 4356
    .kernarg_segment_align: 8
    .kernarg_segment_size: 104
    .language:       OpenCL C
    .language_version:
      - 2
      - 0
    .max_flat_workgroup_size: 121
    .name:           bluestein_single_back_len1089_dim1_half_op_CI_CI
    .private_segment_fixed_size: 0
    .sgpr_count:     22
    .sgpr_spill_count: 0
    .symbol:         bluestein_single_back_len1089_dim1_half_op_CI_CI.kd
    .uniform_work_group_size: 1
    .uses_dynamic_stack: false
    .vgpr_count:     161
    .vgpr_spill_count: 0
    .wavefront_size: 32
    .workgroup_processor_mode: 1
amdhsa.target:   amdgcn-amd-amdhsa--gfx1030
amdhsa.version:
  - 1
  - 2
...

	.end_amdgpu_metadata
